;; amdgpu-corpus repo=ROCm/rocFFT kind=compiled arch=gfx1100 opt=O3
	.text
	.amdgcn_target "amdgcn-amd-amdhsa--gfx1100"
	.amdhsa_code_object_version 6
	.protected	fft_rtc_back_len924_factors_2_2_3_7_11_wgs_44_tpt_44_halfLds_dp_ip_CI_unitstride_sbrr_C2R_dirReg ; -- Begin function fft_rtc_back_len924_factors_2_2_3_7_11_wgs_44_tpt_44_halfLds_dp_ip_CI_unitstride_sbrr_C2R_dirReg
	.globl	fft_rtc_back_len924_factors_2_2_3_7_11_wgs_44_tpt_44_halfLds_dp_ip_CI_unitstride_sbrr_C2R_dirReg
	.p2align	8
	.type	fft_rtc_back_len924_factors_2_2_3_7_11_wgs_44_tpt_44_halfLds_dp_ip_CI_unitstride_sbrr_C2R_dirReg,@function
fft_rtc_back_len924_factors_2_2_3_7_11_wgs_44_tpt_44_halfLds_dp_ip_CI_unitstride_sbrr_C2R_dirReg: ; @fft_rtc_back_len924_factors_2_2_3_7_11_wgs_44_tpt_44_halfLds_dp_ip_CI_unitstride_sbrr_C2R_dirReg
; %bb.0:
	s_clause 0x2
	s_load_b128 s[4:7], s[0:1], 0x0
	s_load_b64 s[8:9], s[0:1], 0x50
	s_load_b64 s[10:11], s[0:1], 0x18
	v_mul_u32_u24_e32 v1, 0x5d2, v0
	v_mov_b32_e32 v3, 0
	v_mov_b32_e32 v4, 0
	s_delay_alu instid0(VALU_DEP_3) | instskip(SKIP_1) | instid1(VALU_DEP_1)
	v_lshrrev_b32_e32 v2, 16, v1
	v_mov_b32_e32 v1, 0
	v_dual_mov_b32 v6, v1 :: v_dual_add_nc_u32 v5, s15, v2
	s_waitcnt lgkmcnt(0)
	v_cmp_lt_u64_e64 s2, s[6:7], 2
	s_delay_alu instid0(VALU_DEP_1)
	s_and_b32 vcc_lo, exec_lo, s2
	s_cbranch_vccnz .LBB0_8
; %bb.1:
	s_load_b64 s[2:3], s[0:1], 0x10
	v_mov_b32_e32 v3, 0
	s_add_u32 s12, s10, 8
	v_mov_b32_e32 v4, 0
	s_addc_u32 s13, s11, 0
	s_mov_b64 s[16:17], 1
	s_waitcnt lgkmcnt(0)
	s_add_u32 s14, s2, 8
	s_addc_u32 s15, s3, 0
.LBB0_2:                                ; =>This Inner Loop Header: Depth=1
	s_load_b64 s[18:19], s[14:15], 0x0
                                        ; implicit-def: $vgpr7_vgpr8
	s_mov_b32 s2, exec_lo
	s_waitcnt lgkmcnt(0)
	v_or_b32_e32 v2, s19, v6
	s_delay_alu instid0(VALU_DEP_1)
	v_cmpx_ne_u64_e32 0, v[1:2]
	s_xor_b32 s3, exec_lo, s2
	s_cbranch_execz .LBB0_4
; %bb.3:                                ;   in Loop: Header=BB0_2 Depth=1
	v_cvt_f32_u32_e32 v2, s18
	v_cvt_f32_u32_e32 v7, s19
	s_sub_u32 s2, 0, s18
	s_subb_u32 s20, 0, s19
	s_delay_alu instid0(VALU_DEP_1) | instskip(NEXT) | instid1(VALU_DEP_1)
	v_fmac_f32_e32 v2, 0x4f800000, v7
	v_rcp_f32_e32 v2, v2
	s_waitcnt_depctr 0xfff
	v_mul_f32_e32 v2, 0x5f7ffffc, v2
	s_delay_alu instid0(VALU_DEP_1) | instskip(NEXT) | instid1(VALU_DEP_1)
	v_mul_f32_e32 v7, 0x2f800000, v2
	v_trunc_f32_e32 v7, v7
	s_delay_alu instid0(VALU_DEP_1) | instskip(SKIP_1) | instid1(VALU_DEP_2)
	v_fmac_f32_e32 v2, 0xcf800000, v7
	v_cvt_u32_f32_e32 v7, v7
	v_cvt_u32_f32_e32 v2, v2
	s_delay_alu instid0(VALU_DEP_2) | instskip(NEXT) | instid1(VALU_DEP_2)
	v_mul_lo_u32 v8, s2, v7
	v_mul_hi_u32 v9, s2, v2
	v_mul_lo_u32 v10, s20, v2
	s_delay_alu instid0(VALU_DEP_2) | instskip(SKIP_1) | instid1(VALU_DEP_2)
	v_add_nc_u32_e32 v8, v9, v8
	v_mul_lo_u32 v9, s2, v2
	v_add_nc_u32_e32 v8, v8, v10
	s_delay_alu instid0(VALU_DEP_2) | instskip(NEXT) | instid1(VALU_DEP_2)
	v_mul_hi_u32 v10, v2, v9
	v_mul_lo_u32 v11, v2, v8
	v_mul_hi_u32 v12, v2, v8
	v_mul_hi_u32 v13, v7, v9
	v_mul_lo_u32 v9, v7, v9
	v_mul_hi_u32 v14, v7, v8
	v_mul_lo_u32 v8, v7, v8
	v_add_co_u32 v10, vcc_lo, v10, v11
	v_add_co_ci_u32_e32 v11, vcc_lo, 0, v12, vcc_lo
	s_delay_alu instid0(VALU_DEP_2) | instskip(NEXT) | instid1(VALU_DEP_2)
	v_add_co_u32 v9, vcc_lo, v10, v9
	v_add_co_ci_u32_e32 v9, vcc_lo, v11, v13, vcc_lo
	v_add_co_ci_u32_e32 v10, vcc_lo, 0, v14, vcc_lo
	s_delay_alu instid0(VALU_DEP_2) | instskip(NEXT) | instid1(VALU_DEP_2)
	v_add_co_u32 v8, vcc_lo, v9, v8
	v_add_co_ci_u32_e32 v9, vcc_lo, 0, v10, vcc_lo
	s_delay_alu instid0(VALU_DEP_2) | instskip(NEXT) | instid1(VALU_DEP_2)
	v_add_co_u32 v2, vcc_lo, v2, v8
	v_add_co_ci_u32_e32 v7, vcc_lo, v7, v9, vcc_lo
	s_delay_alu instid0(VALU_DEP_2) | instskip(SKIP_1) | instid1(VALU_DEP_3)
	v_mul_hi_u32 v8, s2, v2
	v_mul_lo_u32 v10, s20, v2
	v_mul_lo_u32 v9, s2, v7
	s_delay_alu instid0(VALU_DEP_1) | instskip(SKIP_1) | instid1(VALU_DEP_2)
	v_add_nc_u32_e32 v8, v8, v9
	v_mul_lo_u32 v9, s2, v2
	v_add_nc_u32_e32 v8, v8, v10
	s_delay_alu instid0(VALU_DEP_2) | instskip(NEXT) | instid1(VALU_DEP_2)
	v_mul_hi_u32 v10, v2, v9
	v_mul_lo_u32 v11, v2, v8
	v_mul_hi_u32 v12, v2, v8
	v_mul_hi_u32 v13, v7, v9
	v_mul_lo_u32 v9, v7, v9
	v_mul_hi_u32 v14, v7, v8
	v_mul_lo_u32 v8, v7, v8
	v_add_co_u32 v10, vcc_lo, v10, v11
	v_add_co_ci_u32_e32 v11, vcc_lo, 0, v12, vcc_lo
	s_delay_alu instid0(VALU_DEP_2) | instskip(NEXT) | instid1(VALU_DEP_2)
	v_add_co_u32 v9, vcc_lo, v10, v9
	v_add_co_ci_u32_e32 v9, vcc_lo, v11, v13, vcc_lo
	v_add_co_ci_u32_e32 v10, vcc_lo, 0, v14, vcc_lo
	s_delay_alu instid0(VALU_DEP_2) | instskip(NEXT) | instid1(VALU_DEP_2)
	v_add_co_u32 v8, vcc_lo, v9, v8
	v_add_co_ci_u32_e32 v9, vcc_lo, 0, v10, vcc_lo
	s_delay_alu instid0(VALU_DEP_2) | instskip(NEXT) | instid1(VALU_DEP_2)
	v_add_co_u32 v2, vcc_lo, v2, v8
	v_add_co_ci_u32_e32 v13, vcc_lo, v7, v9, vcc_lo
	s_delay_alu instid0(VALU_DEP_2) | instskip(SKIP_1) | instid1(VALU_DEP_3)
	v_mul_hi_u32 v14, v5, v2
	v_mad_u64_u32 v[9:10], null, v6, v2, 0
	v_mad_u64_u32 v[7:8], null, v5, v13, 0
	;; [unrolled: 1-line block ×3, first 2 shown]
	s_delay_alu instid0(VALU_DEP_2) | instskip(NEXT) | instid1(VALU_DEP_3)
	v_add_co_u32 v2, vcc_lo, v14, v7
	v_add_co_ci_u32_e32 v7, vcc_lo, 0, v8, vcc_lo
	s_delay_alu instid0(VALU_DEP_2) | instskip(NEXT) | instid1(VALU_DEP_2)
	v_add_co_u32 v2, vcc_lo, v2, v9
	v_add_co_ci_u32_e32 v2, vcc_lo, v7, v10, vcc_lo
	v_add_co_ci_u32_e32 v7, vcc_lo, 0, v12, vcc_lo
	s_delay_alu instid0(VALU_DEP_2) | instskip(NEXT) | instid1(VALU_DEP_2)
	v_add_co_u32 v2, vcc_lo, v2, v11
	v_add_co_ci_u32_e32 v9, vcc_lo, 0, v7, vcc_lo
	s_delay_alu instid0(VALU_DEP_2) | instskip(SKIP_1) | instid1(VALU_DEP_3)
	v_mul_lo_u32 v10, s19, v2
	v_mad_u64_u32 v[7:8], null, s18, v2, 0
	v_mul_lo_u32 v11, s18, v9
	s_delay_alu instid0(VALU_DEP_2) | instskip(NEXT) | instid1(VALU_DEP_2)
	v_sub_co_u32 v7, vcc_lo, v5, v7
	v_add3_u32 v8, v8, v11, v10
	s_delay_alu instid0(VALU_DEP_1) | instskip(NEXT) | instid1(VALU_DEP_1)
	v_sub_nc_u32_e32 v10, v6, v8
	v_subrev_co_ci_u32_e64 v10, s2, s19, v10, vcc_lo
	v_add_co_u32 v11, s2, v2, 2
	s_delay_alu instid0(VALU_DEP_1) | instskip(SKIP_3) | instid1(VALU_DEP_3)
	v_add_co_ci_u32_e64 v12, s2, 0, v9, s2
	v_sub_co_u32 v13, s2, v7, s18
	v_sub_co_ci_u32_e32 v8, vcc_lo, v6, v8, vcc_lo
	v_subrev_co_ci_u32_e64 v10, s2, 0, v10, s2
	v_cmp_le_u32_e32 vcc_lo, s18, v13
	s_delay_alu instid0(VALU_DEP_3) | instskip(SKIP_1) | instid1(VALU_DEP_4)
	v_cmp_eq_u32_e64 s2, s19, v8
	v_cndmask_b32_e64 v13, 0, -1, vcc_lo
	v_cmp_le_u32_e32 vcc_lo, s19, v10
	v_cndmask_b32_e64 v14, 0, -1, vcc_lo
	v_cmp_le_u32_e32 vcc_lo, s18, v7
	;; [unrolled: 2-line block ×3, first 2 shown]
	v_cndmask_b32_e64 v15, 0, -1, vcc_lo
	v_cmp_eq_u32_e32 vcc_lo, s19, v10
	s_delay_alu instid0(VALU_DEP_2) | instskip(SKIP_3) | instid1(VALU_DEP_3)
	v_cndmask_b32_e64 v7, v15, v7, s2
	v_cndmask_b32_e32 v10, v14, v13, vcc_lo
	v_add_co_u32 v13, vcc_lo, v2, 1
	v_add_co_ci_u32_e32 v14, vcc_lo, 0, v9, vcc_lo
	v_cmp_ne_u32_e32 vcc_lo, 0, v10
	s_delay_alu instid0(VALU_DEP_2) | instskip(NEXT) | instid1(VALU_DEP_4)
	v_cndmask_b32_e32 v8, v14, v12, vcc_lo
	v_cndmask_b32_e32 v10, v13, v11, vcc_lo
	v_cmp_ne_u32_e32 vcc_lo, 0, v7
	s_delay_alu instid0(VALU_DEP_2)
	v_dual_cndmask_b32 v7, v2, v10 :: v_dual_cndmask_b32 v8, v9, v8
.LBB0_4:                                ;   in Loop: Header=BB0_2 Depth=1
	s_and_not1_saveexec_b32 s2, s3
	s_cbranch_execz .LBB0_6
; %bb.5:                                ;   in Loop: Header=BB0_2 Depth=1
	v_cvt_f32_u32_e32 v2, s18
	s_sub_i32 s3, 0, s18
	s_delay_alu instid0(VALU_DEP_1) | instskip(SKIP_2) | instid1(VALU_DEP_1)
	v_rcp_iflag_f32_e32 v2, v2
	s_waitcnt_depctr 0xfff
	v_mul_f32_e32 v2, 0x4f7ffffe, v2
	v_cvt_u32_f32_e32 v2, v2
	s_delay_alu instid0(VALU_DEP_1) | instskip(NEXT) | instid1(VALU_DEP_1)
	v_mul_lo_u32 v7, s3, v2
	v_mul_hi_u32 v7, v2, v7
	s_delay_alu instid0(VALU_DEP_1) | instskip(NEXT) | instid1(VALU_DEP_1)
	v_add_nc_u32_e32 v2, v2, v7
	v_mul_hi_u32 v2, v5, v2
	s_delay_alu instid0(VALU_DEP_1) | instskip(SKIP_1) | instid1(VALU_DEP_2)
	v_mul_lo_u32 v7, v2, s18
	v_add_nc_u32_e32 v8, 1, v2
	v_sub_nc_u32_e32 v7, v5, v7
	s_delay_alu instid0(VALU_DEP_1) | instskip(SKIP_1) | instid1(VALU_DEP_2)
	v_subrev_nc_u32_e32 v9, s18, v7
	v_cmp_le_u32_e32 vcc_lo, s18, v7
	v_dual_cndmask_b32 v7, v7, v9 :: v_dual_cndmask_b32 v2, v2, v8
	s_delay_alu instid0(VALU_DEP_1) | instskip(NEXT) | instid1(VALU_DEP_2)
	v_cmp_le_u32_e32 vcc_lo, s18, v7
	v_add_nc_u32_e32 v8, 1, v2
	s_delay_alu instid0(VALU_DEP_1)
	v_dual_cndmask_b32 v7, v2, v8 :: v_dual_mov_b32 v8, v1
.LBB0_6:                                ;   in Loop: Header=BB0_2 Depth=1
	s_or_b32 exec_lo, exec_lo, s2
	s_load_b64 s[2:3], s[12:13], 0x0
	s_delay_alu instid0(VALU_DEP_1) | instskip(NEXT) | instid1(VALU_DEP_2)
	v_mul_lo_u32 v2, v8, s18
	v_mul_lo_u32 v11, v7, s19
	v_mad_u64_u32 v[9:10], null, v7, s18, 0
	s_add_u32 s16, s16, 1
	s_addc_u32 s17, s17, 0
	s_add_u32 s12, s12, 8
	s_addc_u32 s13, s13, 0
	;; [unrolled: 2-line block ×3, first 2 shown]
	s_delay_alu instid0(VALU_DEP_1) | instskip(SKIP_1) | instid1(VALU_DEP_2)
	v_add3_u32 v2, v10, v11, v2
	v_sub_co_u32 v9, vcc_lo, v5, v9
	v_sub_co_ci_u32_e32 v2, vcc_lo, v6, v2, vcc_lo
	s_waitcnt lgkmcnt(0)
	s_delay_alu instid0(VALU_DEP_2) | instskip(NEXT) | instid1(VALU_DEP_2)
	v_mul_lo_u32 v10, s3, v9
	v_mul_lo_u32 v2, s2, v2
	v_mad_u64_u32 v[5:6], null, s2, v9, v[3:4]
	v_cmp_ge_u64_e64 s2, s[16:17], s[6:7]
	s_delay_alu instid0(VALU_DEP_1) | instskip(NEXT) | instid1(VALU_DEP_2)
	s_and_b32 vcc_lo, exec_lo, s2
	v_add3_u32 v4, v10, v6, v2
	s_delay_alu instid0(VALU_DEP_3)
	v_mov_b32_e32 v3, v5
	s_cbranch_vccnz .LBB0_9
; %bb.7:                                ;   in Loop: Header=BB0_2 Depth=1
	v_dual_mov_b32 v5, v7 :: v_dual_mov_b32 v6, v8
	s_branch .LBB0_2
.LBB0_8:
	v_dual_mov_b32 v8, v6 :: v_dual_mov_b32 v7, v5
.LBB0_9:
	s_lshl_b64 s[2:3], s[6:7], 3
	s_delay_alu instid0(SALU_CYCLE_1)
	s_add_u32 s2, s10, s2
	s_addc_u32 s3, s11, s3
	s_load_b64 s[2:3], s[2:3], 0x0
	s_load_b64 s[0:1], s[0:1], 0x20
	s_waitcnt lgkmcnt(0)
	v_mul_lo_u32 v5, s2, v8
	v_mul_lo_u32 v6, s3, v7
	v_mad_u64_u32 v[1:2], null, s2, v7, v[3:4]
	v_mul_hi_u32 v3, 0x5d1745e, v0
	v_cmp_gt_u64_e32 vcc_lo, s[0:1], v[7:8]
	s_delay_alu instid0(VALU_DEP_3) | instskip(NEXT) | instid1(VALU_DEP_3)
	v_add3_u32 v2, v6, v2, v5
	v_mul_u32_u24_e32 v3, 44, v3
	s_delay_alu instid0(VALU_DEP_2) | instskip(NEXT) | instid1(VALU_DEP_2)
	v_lshlrev_b64 v[98:99], 4, v[1:2]
	v_sub_nc_u32_e32 v96, v0, v3
	s_and_saveexec_b32 s1, vcc_lo
	s_cbranch_execz .LBB0_13
; %bb.10:
	v_mov_b32_e32 v97, 0
	s_delay_alu instid0(VALU_DEP_3) | instskip(NEXT) | instid1(VALU_DEP_1)
	v_add_co_u32 v0, s0, s8, v98
	v_add_co_ci_u32_e64 v1, s0, s9, v99, s0
	s_delay_alu instid0(VALU_DEP_3) | instskip(SKIP_3) | instid1(VALU_DEP_4)
	v_lshlrev_b64 v[2:3], 4, v[96:97]
	v_or_b32_e32 v42, 0x2c0, v96
	v_mov_b32_e32 v43, v97
	v_lshl_add_u32 v86, v96, 4, 0
	v_add_co_u32 v58, s0, v0, v2
	s_delay_alu instid0(VALU_DEP_1) | instskip(NEXT) | instid1(VALU_DEP_4)
	v_add_co_ci_u32_e64 v59, s0, v1, v3, s0
	v_lshlrev_b64 v[60:61], 4, v[42:43]
	s_delay_alu instid0(VALU_DEP_3) | instskip(NEXT) | instid1(VALU_DEP_1)
	v_add_co_u32 v46, s0, 0x1000, v58
	v_add_co_ci_u32_e64 v47, s0, 0, v59, s0
	v_add_co_u32 v70, s0, 0x2000, v58
	s_delay_alu instid0(VALU_DEP_1) | instskip(SKIP_1) | instid1(VALU_DEP_1)
	v_add_co_ci_u32_e64 v71, s0, 0, v59, s0
	v_add_co_u32 v66, s0, v0, v60
	v_add_co_ci_u32_e64 v67, s0, v1, v61, s0
	v_add_co_u32 v82, s0, 0x3000, v58
	s_delay_alu instid0(VALU_DEP_1)
	v_add_co_ci_u32_e64 v83, s0, 0, v59, s0
	s_clause 0x14
	global_load_b128 v[2:5], v[58:59], off
	global_load_b128 v[6:9], v[58:59], off offset:704
	global_load_b128 v[10:13], v[58:59], off offset:1408
	;; [unrolled: 1-line block ×15, first 2 shown]
	global_load_b128 v[66:69], v[66:67], off
	global_load_b128 v[70:73], v[70:71], off offset:3776
	global_load_b128 v[74:77], v[82:83], off offset:384
	global_load_b128 v[78:81], v[82:83], off offset:1088
	global_load_b128 v[82:85], v[82:83], off offset:1792
	v_cmp_eq_u32_e64 s0, 43, v96
	s_waitcnt vmcnt(20)
	ds_store_b128 v86, v[2:5]
	s_waitcnt vmcnt(19)
	ds_store_b128 v86, v[6:9] offset:704
	s_waitcnt vmcnt(18)
	ds_store_b128 v86, v[10:13] offset:1408
	;; [unrolled: 2-line block ×20, first 2 shown]
	s_and_saveexec_b32 s2, s0
	s_cbranch_execz .LBB0_12
; %bb.11:
	v_add_co_u32 v0, s0, 0x3000, v0
	s_delay_alu instid0(VALU_DEP_1)
	v_add_co_ci_u32_e64 v1, s0, 0, v1, s0
	v_mov_b32_e32 v96, 43
	global_load_b128 v[0:3], v[0:1], off offset:2496
	s_waitcnt vmcnt(0)
	ds_store_b128 v97, v[0:3] offset:14784
.LBB0_12:
	s_or_b32 exec_lo, exec_lo, s2
.LBB0_13:
	s_delay_alu instid0(SALU_CYCLE_1) | instskip(NEXT) | instid1(VALU_DEP_1)
	s_or_b32 exec_lo, exec_lo, s1
	v_lshlrev_b32_e32 v0, 4, v96
	s_waitcnt lgkmcnt(0)
	s_barrier
	buffer_gl0_inv
	s_add_u32 s1, s4, 0x39a0
	v_add_nc_u32_e32 v152, 0, v0
	v_sub_nc_u32_e32 v10, 0, v0
	s_addc_u32 s2, s5, 0
	s_mov_b32 s3, exec_lo
                                        ; implicit-def: $vgpr4_vgpr5
	ds_load_b64 v[6:7], v152
	ds_load_b64 v[8:9], v10 offset:14784
	s_waitcnt lgkmcnt(0)
	v_add_f64 v[0:1], v[6:7], v[8:9]
	v_add_f64 v[2:3], v[6:7], -v[8:9]
	v_cmpx_ne_u32_e32 0, v96
	s_xor_b32 s3, exec_lo, s3
	s_cbranch_execz .LBB0_15
; %bb.14:
	v_mov_b32_e32 v97, 0
	v_add_f64 v[13:14], v[6:7], v[8:9]
	v_add_f64 v[15:16], v[6:7], -v[8:9]
	s_delay_alu instid0(VALU_DEP_3) | instskip(NEXT) | instid1(VALU_DEP_1)
	v_lshlrev_b64 v[0:1], 4, v[96:97]
	v_add_co_u32 v0, s0, s1, v0
	s_delay_alu instid0(VALU_DEP_1)
	v_add_co_ci_u32_e64 v1, s0, s2, v1, s0
	global_load_b128 v[2:5], v[0:1], off
	ds_load_b64 v[0:1], v10 offset:14792
	ds_load_b64 v[11:12], v152 offset:8
	s_waitcnt lgkmcnt(0)
	v_add_f64 v[6:7], v[0:1], v[11:12]
	v_add_f64 v[0:1], v[11:12], -v[0:1]
	s_waitcnt vmcnt(0)
	v_fma_f64 v[8:9], v[15:16], v[4:5], v[13:14]
	v_fma_f64 v[11:12], -v[15:16], v[4:5], v[13:14]
	s_delay_alu instid0(VALU_DEP_3) | instskip(SKIP_1) | instid1(VALU_DEP_4)
	v_fma_f64 v[13:14], v[6:7], v[4:5], -v[0:1]
	v_fma_f64 v[4:5], v[6:7], v[4:5], v[0:1]
	v_fma_f64 v[0:1], -v[6:7], v[2:3], v[8:9]
	s_delay_alu instid0(VALU_DEP_4) | instskip(NEXT) | instid1(VALU_DEP_4)
	v_fma_f64 v[6:7], v[6:7], v[2:3], v[11:12]
	v_fma_f64 v[8:9], v[15:16], v[2:3], v[13:14]
	s_delay_alu instid0(VALU_DEP_4)
	v_fma_f64 v[2:3], v[15:16], v[2:3], v[4:5]
	v_dual_mov_b32 v4, v96 :: v_dual_mov_b32 v5, v97
	ds_store_b128 v10, v[6:9] offset:14784
.LBB0_15:
	s_and_not1_saveexec_b32 s0, s3
	s_cbranch_execz .LBB0_17
; %bb.16:
	v_mov_b32_e32 v8, 0
	ds_load_b128 v[4:7], v8 offset:7392
	s_waitcnt lgkmcnt(0)
	v_add_f64 v[11:12], v[4:5], v[4:5]
	v_mul_f64 v[13:14], v[6:7], -2.0
	v_mov_b32_e32 v4, 0
	v_mov_b32_e32 v5, 0
	ds_store_b128 v8, v[11:14] offset:7392
.LBB0_17:
	s_or_b32 exec_lo, exec_lo, s0
	v_lshlrev_b64 v[4:5], 4, v[4:5]
	s_delay_alu instid0(VALU_DEP_1) | instskip(NEXT) | instid1(VALU_DEP_1)
	v_add_co_u32 v23, s0, s1, v4
	v_add_co_ci_u32_e64 v24, s0, s2, v5, s0
	s_clause 0x1
	global_load_b128 v[4:7], v[23:24], off offset:704
	global_load_b128 v[11:14], v[23:24], off offset:1408
	ds_store_b128 v152, v[0:3]
	ds_load_b128 v[0:3], v152 offset:704
	ds_load_b128 v[15:18], v10 offset:14080
	global_load_b128 v[19:22], v[23:24], off offset:2112
	s_waitcnt lgkmcnt(0)
	v_add_f64 v[8:9], v[0:1], v[15:16]
	v_add_f64 v[25:26], v[17:18], v[2:3]
	v_add_f64 v[15:16], v[0:1], -v[15:16]
	v_add_f64 v[0:1], v[2:3], -v[17:18]
	s_waitcnt vmcnt(2)
	s_delay_alu instid0(VALU_DEP_2) | instskip(NEXT) | instid1(VALU_DEP_2)
	v_fma_f64 v[2:3], v[15:16], v[6:7], v[8:9]
	v_fma_f64 v[17:18], v[25:26], v[6:7], v[0:1]
	v_fma_f64 v[8:9], -v[15:16], v[6:7], v[8:9]
	v_fma_f64 v[27:28], v[25:26], v[6:7], -v[0:1]
	s_delay_alu instid0(VALU_DEP_4) | instskip(NEXT) | instid1(VALU_DEP_4)
	v_fma_f64 v[0:1], -v[25:26], v[4:5], v[2:3]
	v_fma_f64 v[2:3], v[15:16], v[4:5], v[17:18]
	s_delay_alu instid0(VALU_DEP_4) | instskip(NEXT) | instid1(VALU_DEP_4)
	v_fma_f64 v[6:7], v[25:26], v[4:5], v[8:9]
	v_fma_f64 v[8:9], v[15:16], v[4:5], v[27:28]
	ds_store_b128 v152, v[0:3] offset:704
	ds_store_b128 v10, v[6:9] offset:14080
	ds_load_b128 v[0:3], v152 offset:1408
	ds_load_b128 v[4:7], v10 offset:13376
	global_load_b128 v[15:18], v[23:24], off offset:2816
	s_waitcnt lgkmcnt(0)
	v_add_f64 v[8:9], v[0:1], v[4:5]
	v_add_f64 v[25:26], v[6:7], v[2:3]
	v_add_f64 v[27:28], v[0:1], -v[4:5]
	v_add_f64 v[0:1], v[2:3], -v[6:7]
	s_waitcnt vmcnt(2)
	s_delay_alu instid0(VALU_DEP_2) | instskip(NEXT) | instid1(VALU_DEP_2)
	v_fma_f64 v[2:3], v[27:28], v[13:14], v[8:9]
	v_fma_f64 v[4:5], v[25:26], v[13:14], v[0:1]
	v_fma_f64 v[6:7], -v[27:28], v[13:14], v[8:9]
	v_fma_f64 v[8:9], v[25:26], v[13:14], -v[0:1]
	s_delay_alu instid0(VALU_DEP_4) | instskip(NEXT) | instid1(VALU_DEP_4)
	v_fma_f64 v[0:1], -v[25:26], v[11:12], v[2:3]
	v_fma_f64 v[2:3], v[27:28], v[11:12], v[4:5]
	s_delay_alu instid0(VALU_DEP_4) | instskip(NEXT) | instid1(VALU_DEP_4)
	v_fma_f64 v[4:5], v[25:26], v[11:12], v[6:7]
	v_fma_f64 v[6:7], v[27:28], v[11:12], v[8:9]
	ds_store_b128 v152, v[0:3] offset:1408
	ds_store_b128 v10, v[4:7] offset:13376
	;; [unrolled: 22-line block ×3, first 2 shown]
	ds_load_b128 v[2:5], v152 offset:2816
	ds_load_b128 v[6:9], v10 offset:11968
	v_add_co_u32 v0, s0, 0x1000, v23
	s_delay_alu instid0(VALU_DEP_1)
	v_add_co_ci_u32_e64 v1, s0, 0, v24, s0
	v_cmp_gt_u32_e64 s0, 22, v96
	global_load_b128 v[19:22], v[0:1], off offset:128
	s_waitcnt lgkmcnt(0)
	v_add_f64 v[23:24], v[2:3], v[6:7]
	v_add_f64 v[25:26], v[8:9], v[4:5]
	v_add_f64 v[27:28], v[2:3], -v[6:7]
	v_add_f64 v[2:3], v[4:5], -v[8:9]
	s_waitcnt vmcnt(2)
	s_delay_alu instid0(VALU_DEP_2) | instskip(NEXT) | instid1(VALU_DEP_2)
	v_fma_f64 v[4:5], v[27:28], v[17:18], v[23:24]
	v_fma_f64 v[6:7], v[25:26], v[17:18], v[2:3]
	v_fma_f64 v[8:9], -v[27:28], v[17:18], v[23:24]
	v_fma_f64 v[17:18], v[25:26], v[17:18], -v[2:3]
	s_delay_alu instid0(VALU_DEP_4) | instskip(NEXT) | instid1(VALU_DEP_4)
	v_fma_f64 v[2:3], -v[25:26], v[15:16], v[4:5]
	v_fma_f64 v[4:5], v[27:28], v[15:16], v[6:7]
	s_delay_alu instid0(VALU_DEP_4) | instskip(NEXT) | instid1(VALU_DEP_4)
	v_fma_f64 v[6:7], v[25:26], v[15:16], v[8:9]
	v_fma_f64 v[8:9], v[27:28], v[15:16], v[17:18]
	ds_store_b128 v152, v[2:5] offset:2816
	ds_store_b128 v10, v[6:9] offset:11968
	ds_load_b128 v[2:5], v152 offset:3520
	ds_load_b128 v[6:9], v10 offset:11264
	global_load_b128 v[15:18], v[0:1], off offset:832
	s_waitcnt lgkmcnt(0)
	v_add_f64 v[23:24], v[2:3], v[6:7]
	v_add_f64 v[25:26], v[8:9], v[4:5]
	v_add_f64 v[27:28], v[2:3], -v[6:7]
	v_add_f64 v[2:3], v[4:5], -v[8:9]
	s_waitcnt vmcnt(2)
	s_delay_alu instid0(VALU_DEP_2) | instskip(NEXT) | instid1(VALU_DEP_2)
	v_fma_f64 v[4:5], v[27:28], v[13:14], v[23:24]
	v_fma_f64 v[6:7], v[25:26], v[13:14], v[2:3]
	v_fma_f64 v[8:9], -v[27:28], v[13:14], v[23:24]
	v_fma_f64 v[13:14], v[25:26], v[13:14], -v[2:3]
	s_delay_alu instid0(VALU_DEP_4) | instskip(NEXT) | instid1(VALU_DEP_4)
	v_fma_f64 v[2:3], -v[25:26], v[11:12], v[4:5]
	v_fma_f64 v[4:5], v[27:28], v[11:12], v[6:7]
	s_delay_alu instid0(VALU_DEP_4) | instskip(NEXT) | instid1(VALU_DEP_4)
	v_fma_f64 v[6:7], v[25:26], v[11:12], v[8:9]
	v_fma_f64 v[8:9], v[27:28], v[11:12], v[13:14]
	ds_store_b128 v152, v[2:5] offset:3520
	ds_store_b128 v10, v[6:9] offset:11264
	ds_load_b128 v[2:5], v152 offset:4224
	ds_load_b128 v[6:9], v10 offset:10560
	;; [unrolled: 22-line block ×4, first 2 shown]
	s_waitcnt lgkmcnt(0)
	v_add_f64 v[15:16], v[2:3], v[6:7]
	v_add_f64 v[17:18], v[8:9], v[4:5]
	v_add_f64 v[23:24], v[2:3], -v[6:7]
	v_add_f64 v[2:3], v[4:5], -v[8:9]
	s_waitcnt vmcnt(1)
	s_delay_alu instid0(VALU_DEP_2) | instskip(NEXT) | instid1(VALU_DEP_2)
	v_fma_f64 v[4:5], v[23:24], v[13:14], v[15:16]
	v_fma_f64 v[6:7], v[17:18], v[13:14], v[2:3]
	v_fma_f64 v[8:9], -v[23:24], v[13:14], v[15:16]
	v_fma_f64 v[13:14], v[17:18], v[13:14], -v[2:3]
	s_delay_alu instid0(VALU_DEP_4) | instskip(NEXT) | instid1(VALU_DEP_4)
	v_fma_f64 v[2:3], -v[17:18], v[11:12], v[4:5]
	v_fma_f64 v[4:5], v[23:24], v[11:12], v[6:7]
	s_delay_alu instid0(VALU_DEP_4) | instskip(NEXT) | instid1(VALU_DEP_4)
	v_fma_f64 v[6:7], v[17:18], v[11:12], v[8:9]
	v_fma_f64 v[8:9], v[23:24], v[11:12], v[13:14]
	ds_store_b128 v152, v[2:5] offset:5632
	ds_store_b128 v10, v[6:9] offset:9152
	ds_load_b128 v[2:5], v152 offset:6336
	ds_load_b128 v[6:9], v10 offset:8448
	s_waitcnt lgkmcnt(0)
	v_add_f64 v[11:12], v[2:3], v[6:7]
	v_add_f64 v[13:14], v[8:9], v[4:5]
	v_add_f64 v[15:16], v[2:3], -v[6:7]
	v_add_f64 v[2:3], v[4:5], -v[8:9]
	s_waitcnt vmcnt(0)
	s_delay_alu instid0(VALU_DEP_2) | instskip(NEXT) | instid1(VALU_DEP_2)
	v_fma_f64 v[4:5], v[15:16], v[21:22], v[11:12]
	v_fma_f64 v[6:7], v[13:14], v[21:22], v[2:3]
	v_fma_f64 v[8:9], -v[15:16], v[21:22], v[11:12]
	v_fma_f64 v[11:12], v[13:14], v[21:22], -v[2:3]
	s_delay_alu instid0(VALU_DEP_4) | instskip(NEXT) | instid1(VALU_DEP_4)
	v_fma_f64 v[2:3], -v[13:14], v[19:20], v[4:5]
	v_fma_f64 v[4:5], v[15:16], v[19:20], v[6:7]
	s_delay_alu instid0(VALU_DEP_4) | instskip(NEXT) | instid1(VALU_DEP_4)
	v_fma_f64 v[6:7], v[13:14], v[19:20], v[8:9]
	v_fma_f64 v[8:9], v[15:16], v[19:20], v[11:12]
	ds_store_b128 v152, v[2:5] offset:6336
	ds_store_b128 v10, v[6:9] offset:8448
	s_and_saveexec_b32 s1, s0
	s_cbranch_execz .LBB0_19
; %bb.18:
	global_load_b128 v[0:3], v[0:1], off offset:2944
	ds_load_b128 v[4:7], v152 offset:7040
	ds_load_b128 v[11:14], v10 offset:7744
	s_waitcnt lgkmcnt(0)
	v_add_f64 v[8:9], v[4:5], v[11:12]
	v_add_f64 v[15:16], v[13:14], v[6:7]
	v_add_f64 v[11:12], v[4:5], -v[11:12]
	v_add_f64 v[4:5], v[6:7], -v[13:14]
	s_waitcnt vmcnt(0)
	s_delay_alu instid0(VALU_DEP_2) | instskip(NEXT) | instid1(VALU_DEP_2)
	v_fma_f64 v[6:7], v[11:12], v[2:3], v[8:9]
	v_fma_f64 v[13:14], v[15:16], v[2:3], v[4:5]
	v_fma_f64 v[8:9], -v[11:12], v[2:3], v[8:9]
	v_fma_f64 v[17:18], v[15:16], v[2:3], -v[4:5]
	s_delay_alu instid0(VALU_DEP_4) | instskip(NEXT) | instid1(VALU_DEP_4)
	v_fma_f64 v[2:3], -v[15:16], v[0:1], v[6:7]
	v_fma_f64 v[4:5], v[11:12], v[0:1], v[13:14]
	s_delay_alu instid0(VALU_DEP_4) | instskip(NEXT) | instid1(VALU_DEP_4)
	v_fma_f64 v[6:7], v[15:16], v[0:1], v[8:9]
	v_fma_f64 v[8:9], v[11:12], v[0:1], v[17:18]
	ds_store_b128 v152, v[2:5] offset:7040
	ds_store_b128 v10, v[6:9] offset:7744
.LBB0_19:
	s_or_b32 exec_lo, exec_lo, s1
	s_waitcnt lgkmcnt(0)
	s_barrier
	buffer_gl0_inv
	s_barrier
	buffer_gl0_inv
	ds_load_b128 v[0:3], v152 offset:7392
	ds_load_b128 v[4:7], v152
	ds_load_b128 v[8:11], v152 offset:704
	ds_load_b128 v[12:15], v152 offset:8096
	;; [unrolled: 1-line block ×19, first 2 shown]
	s_waitcnt lgkmcnt(19)
	v_add_f64 v[80:81], v[4:5], -v[0:1]
	v_add_f64 v[82:83], v[6:7], -v[2:3]
	ds_load_b128 v[0:3], v152 offset:13728
	s_waitcnt lgkmcnt(18)
	v_add_f64 v[12:13], v[8:9], -v[12:13]
	v_add_f64 v[14:15], v[10:11], -v[14:15]
	s_waitcnt lgkmcnt(16)
	v_add_f64 v[16:17], v[20:21], -v[16:17]
	v_add_f64 v[18:19], v[22:23], -v[18:19]
	;; [unrolled: 3-line block ×3, first 2 shown]
	s_waitcnt lgkmcnt(12)
	v_add_f64 v[32:33], v[36:37], -v[32:33]
	s_waitcnt lgkmcnt(10)
	v_add_f64 v[44:45], v[40:41], -v[44:45]
	v_add_f64 v[46:47], v[42:43], -v[46:47]
	s_waitcnt lgkmcnt(8)
	v_add_f64 v[48:49], v[52:53], -v[48:49]
	;; [unrolled: 3-line block ×3, first 2 shown]
	v_add_f64 v[62:63], v[58:59], -v[62:63]
	v_add_f64 v[34:35], v[38:39], -v[34:35]
	s_waitcnt lgkmcnt(4)
	v_add_f64 v[64:65], v[68:69], -v[64:65]
	v_add_f64 v[66:67], v[70:71], -v[66:67]
	v_add_nc_u32_e32 v97, 44, v96
	v_add_nc_u32_e32 v153, 0x58, v96
	v_lshl_add_u32 v95, v96, 5, 0
	s_waitcnt lgkmcnt(0)
	v_add_f64 v[91:92], v[72:73], -v[0:1]
	v_add_f64 v[93:94], v[74:75], -v[2:3]
	;; [unrolled: 1-line block ×4, first 2 shown]
	v_add_nc_u32_e32 v101, 0x84, v96
	v_add_nc_u32_e32 v100, 0xb0, v96
	;; [unrolled: 1-line block ×6, first 2 shown]
	s_barrier
	buffer_gl0_inv
	v_add_nc_u32_e32 v105, 0x18c, v96
	v_lshl_add_u32 v102, v132, 5, 0
	v_add_nc_u32_e32 v88, 0x1b8, v96
	v_fma_f64 v[84:85], v[4:5], 2.0, -v[80:81]
	v_fma_f64 v[86:87], v[6:7], 2.0, -v[82:83]
	;; [unrolled: 1-line block ×22, first 2 shown]
	v_lshl_add_u32 v76, v97, 5, 0
	v_lshl_add_u32 v77, v153, 5, 0
	;; [unrolled: 1-line block ×4, first 2 shown]
	ds_store_b128 v95, v[84:87]
	ds_store_b128 v95, v[80:83] offset:16
	ds_store_b128 v76, v[8:11]
	ds_store_b128 v76, v[12:15] offset:16
	;; [unrolled: 2-line block ×5, first 2 shown]
	v_lshl_add_u32 v8, v154, 5, 0
	v_lshl_add_u32 v9, v89, 5, 0
	;; [unrolled: 1-line block ×3, first 2 shown]
	ds_store_b128 v102, v[40:43]
	ds_store_b128 v102, v[44:47] offset:16
	ds_store_b128 v8, v[52:55]
	ds_store_b128 v8, v[48:51] offset:16
	v_lshl_add_u32 v8, v105, 5, 0
	ds_store_b128 v9, v[56:59]
	ds_store_b128 v9, v[60:63] offset:16
	ds_store_b128 v10, v[68:71]
	ds_store_b128 v10, v[64:67] offset:16
	;; [unrolled: 2-line block ×3, first 2 shown]
	s_and_saveexec_b32 s1, s0
	s_cbranch_execz .LBB0_21
; %bb.20:
	v_lshl_add_u32 v8, v88, 5, 0
	ds_store_b128 v8, v[4:7]
	ds_store_b128 v8, v[0:3] offset:16
.LBB0_21:
	s_or_b32 exec_lo, exec_lo, s1
	s_waitcnt lgkmcnt(0)
	s_barrier
	buffer_gl0_inv
	ds_load_b128 v[8:11], v152
	ds_load_b128 v[12:15], v152 offset:704
	ds_load_b128 v[52:55], v152 offset:7392
	;; [unrolled: 1-line block ×19, first 2 shown]
	v_lshlrev_b32_e32 v104, 1, v96
	v_lshlrev_b32_e32 v103, 1, v97
	;; [unrolled: 1-line block ×10, first 2 shown]
	s_and_saveexec_b32 s1, s0
	s_cbranch_execz .LBB0_23
; %bb.22:
	ds_load_b128 v[4:7], v152 offset:7040
	ds_load_b128 v[0:3], v152 offset:14432
.LBB0_23:
	s_or_b32 exec_lo, exec_lo, s1
	v_and_b32_e32 v105, 1, v96
	s_delay_alu instid0(VALU_DEP_1)
	v_lshlrev_b32_e32 v106, 4, v105
	v_and_or_b32 v104, 0x7c, v104, v105
	v_and_or_b32 v103, 0xfc, v103, v105
	;; [unrolled: 1-line block ×4, first 2 shown]
	global_load_b128 v[106:109], v106, s[4:5]
	v_and_or_b32 v94, 0x1fc, v94, v105
	v_and_or_b32 v93, 0x3fc, v93, v105
	;; [unrolled: 1-line block ×6, first 2 shown]
	v_lshl_add_u32 v104, v104, 4, 0
	v_lshl_add_u32 v103, v103, 4, 0
	;; [unrolled: 1-line block ×3, first 2 shown]
	s_waitcnt vmcnt(0) lgkmcnt(0)
	s_barrier
	buffer_gl0_inv
	v_lshl_add_u32 v95, v95, 4, 0
	v_lshl_add_u32 v94, v94, 4, 0
	;; [unrolled: 1-line block ×7, first 2 shown]
	v_mul_f64 v[110:111], v[54:55], v[108:109]
	v_mul_f64 v[112:113], v[52:53], v[108:109]
	;; [unrolled: 1-line block ×20, first 2 shown]
	v_fma_f64 v[52:53], v[52:53], v[106:107], v[110:111]
	v_fma_f64 v[54:55], v[54:55], v[106:107], -v[112:113]
	v_fma_f64 v[60:61], v[60:61], v[106:107], v[118:119]
	v_fma_f64 v[118:119], v[64:65], v[106:107], v[130:131]
	v_mul_f64 v[130:131], v[2:3], v[108:109]
	v_mul_f64 v[108:109], v[0:1], v[108:109]
	v_fma_f64 v[110:111], v[48:49], v[106:107], v[114:115]
	v_fma_f64 v[112:113], v[50:51], v[106:107], -v[116:117]
	v_fma_f64 v[62:63], v[62:63], v[106:107], -v[120:121]
	v_fma_f64 v[114:115], v[56:57], v[106:107], v[122:123]
	v_fma_f64 v[116:117], v[58:59], v[106:107], -v[124:125]
	v_fma_f64 v[68:69], v[68:69], v[106:107], v[126:127]
	v_fma_f64 v[70:71], v[70:71], v[106:107], -v[128:129]
	v_fma_f64 v[120:121], v[66:67], v[106:107], -v[133:134]
	v_fma_f64 v[76:77], v[76:77], v[106:107], v[135:136]
	v_fma_f64 v[78:79], v[78:79], v[106:107], -v[137:138]
	v_fma_f64 v[122:123], v[72:73], v[106:107], v[139:140]
	v_fma_f64 v[124:125], v[74:75], v[106:107], -v[141:142]
	v_fma_f64 v[84:85], v[84:85], v[106:107], v[143:144]
	v_fma_f64 v[86:87], v[86:87], v[106:107], -v[145:146]
	v_fma_f64 v[126:127], v[80:81], v[106:107], v[147:148]
	v_fma_f64 v[128:129], v[82:83], v[106:107], -v[149:150]
	v_add_f64 v[48:49], v[8:9], -v[52:53]
	v_add_f64 v[50:51], v[10:11], -v[54:55]
	;; [unrolled: 1-line block ×3, first 2 shown]
	v_fma_f64 v[0:1], v[0:1], v[106:107], v[130:131]
	v_fma_f64 v[2:3], v[2:3], v[106:107], -v[108:109]
	v_add_f64 v[52:53], v[12:13], -v[110:111]
	v_add_f64 v[54:55], v[14:15], -v[112:113]
	;; [unrolled: 1-line block ×17, first 2 shown]
	v_fma_f64 v[8:9], v[8:9], 2.0, -v[48:49]
	v_fma_f64 v[10:11], v[10:11], 2.0, -v[50:51]
	;; [unrolled: 1-line block ×3, first 2 shown]
	v_add_f64 v[0:1], v[4:5], -v[0:1]
	v_add_f64 v[2:3], v[6:7], -v[2:3]
	v_fma_f64 v[12:13], v[12:13], 2.0, -v[52:53]
	v_fma_f64 v[14:15], v[14:15], 2.0, -v[54:55]
	;; [unrolled: 1-line block ×17, first 2 shown]
	ds_store_b128 v104, v[8:11]
	ds_store_b128 v104, v[48:51] offset:32
	ds_store_b128 v103, v[12:15]
	ds_store_b128 v103, v[52:55] offset:32
	;; [unrolled: 2-line block ×10, first 2 shown]
	s_and_saveexec_b32 s1, s0
	s_cbranch_execz .LBB0_25
; %bb.24:
	v_fma_f64 v[6:7], v[6:7], 2.0, -v[2:3]
	v_fma_f64 v[4:5], v[4:5], 2.0, -v[0:1]
	v_lshlrev_b32_e32 v8, 1, v88
	s_delay_alu instid0(VALU_DEP_1) | instskip(NEXT) | instid1(VALU_DEP_1)
	v_and_or_b32 v8, 0x3fc, v8, v105
	v_lshl_add_u32 v8, v8, 4, 0
	ds_store_b128 v8, v[4:7]
	ds_store_b128 v8, v[0:3] offset:32
.LBB0_25:
	s_or_b32 exec_lo, exec_lo, s1
	v_and_b32_e32 v155, 3, v96
	s_waitcnt lgkmcnt(0)
	s_barrier
	buffer_gl0_inv
	v_lshrrev_b32_e32 v159, 2, v101
	v_lshlrev_b32_e32 v4, 5, v155
	v_lshrrev_b32_e32 v160, 2, v100
	v_lshrrev_b32_e32 v161, 2, v132
	v_and_b32_e32 v162, 0xff, v96
	v_lshrrev_b32_e32 v154, 2, v154
	s_clause 0x1
	global_load_b128 v[12:15], v4, s[4:5] offset:32
	global_load_b128 v[8:11], v4, s[4:5] offset:48
	ds_load_b128 v[60:63], v152 offset:4928
	ds_load_b128 v[56:59], v152 offset:9856
	;; [unrolled: 1-line block ×15, first 2 shown]
	ds_load_b128 v[88:91], v152
	ds_load_b128 v[84:87], v152 offset:704
	ds_load_b128 v[80:83], v152 offset:1408
	;; [unrolled: 1-line block ×5, first 2 shown]
	v_lshrrev_b32_e32 v156, 2, v96
	v_lshrrev_b32_e32 v157, 2, v97
	;; [unrolled: 1-line block ×3, first 2 shown]
	v_and_b32_e32 v163, 0xff, v97
	v_and_b32_e32 v164, 0xff, v153
	v_mul_u32_u24_e32 v156, 12, v156
	v_mul_u32_u24_e32 v157, 12, v157
	;; [unrolled: 1-line block ×4, first 2 shown]
	s_mov_b32 s0, 0xe8584caa
	s_mov_b32 s1, 0xbfebb67a
	;; [unrolled: 1-line block ×4, first 2 shown]
	v_or_b32_e32 v165, v159, v155
	s_waitcnt vmcnt(0) lgkmcnt(0)
	s_barrier
	buffer_gl0_inv
	s_mov_b32 s14, 0x37e14327
	s_mov_b32 s16, 0xe976ee23
	;; [unrolled: 1-line block ×14, first 2 shown]
	v_mul_f64 v[100:101], v[62:63], v[14:15]
	v_mul_f64 v[102:103], v[60:61], v[14:15]
	;; [unrolled: 1-line block ×28, first 2 shown]
	v_fma_f64 v[60:61], v[60:61], v[12:13], v[100:101]
	v_fma_f64 v[62:63], v[62:63], v[12:13], -v[102:103]
	v_fma_f64 v[56:57], v[56:57], v[8:9], v[104:105]
	v_fma_f64 v[58:59], v[58:59], v[8:9], -v[106:107]
	;; [unrolled: 2-line block ×8, first 2 shown]
	v_fma_f64 v[24:25], v[24:25], v[12:13], v[132:133]
	v_fma_f64 v[28:29], v[28:29], v[8:9], v[136:137]
	v_fma_f64 v[26:27], v[26:27], v[12:13], -v[134:135]
	v_fma_f64 v[30:31], v[30:31], v[8:9], -v[138:139]
	v_fma_f64 v[32:33], v[32:33], v[12:13], v[140:141]
	v_fma_f64 v[100:101], v[16:17], v[8:9], v[144:145]
	v_fma_f64 v[16:17], v[34:35], v[12:13], -v[142:143]
	v_fma_f64 v[34:35], v[18:19], v[8:9], -v[146:147]
	;; [unrolled: 4-line block ×3, first 2 shown]
	v_mul_lo_u16 v8, 0xab, v162
	v_mul_u32_u24_e32 v102, 12, v160
	v_mul_u32_u24_e32 v104, 12, v154
	;; [unrolled: 1-line block ×3, first 2 shown]
	v_mul_lo_u16 v160, 0xab, v163
	v_lshrrev_b16 v12, 11, v8
	v_or_b32_e32 v166, v102, v155
	v_or_b32_e32 v168, v104, v155
	v_mul_lo_u16 v161, 0xab, v164
	v_or_b32_e32 v162, v156, v155
	v_add_f64 v[110:111], v[88:89], v[60:61]
	v_add_f64 v[112:113], v[90:91], v[62:63]
	v_add_f64 v[8:9], v[60:61], v[56:57]
	v_add_f64 v[10:11], v[62:63], v[58:59]
	v_add_f64 v[116:117], v[84:85], v[64:65]
	v_add_f64 v[62:63], v[62:63], -v[58:59]
	v_add_f64 v[20:21], v[64:65], v[44:45]
	v_add_f64 v[22:23], v[66:67], v[46:47]
	v_add_f64 v[60:61], v[60:61], -v[56:57]
	v_add_f64 v[128:129], v[82:83], v[50:51]
	v_add_f64 v[102:103], v[48:49], v[40:41]
	;; [unrolled: 1-line block ×4, first 2 shown]
	v_add_f64 v[150:151], v[50:51], -v[42:43]
	v_add_f64 v[106:107], v[52:53], v[36:37]
	v_add_f64 v[108:109], v[54:55], v[38:39]
	;; [unrolled: 1-line block ×12, first 2 shown]
	v_or_b32_e32 v163, v157, v155
	v_add_f64 v[134:135], v[13:14], v[94:95]
	v_or_b32_e32 v164, v158, v155
	v_or_b32_e32 v167, v15, v155
	v_add_f64 v[66:67], v[66:67], -v[46:47]
	v_add_f64 v[64:65], v[64:65], -v[44:45]
	;; [unrolled: 1-line block ×3, first 2 shown]
	v_add_f64 v[140:141], v[74:75], v[26:27]
	v_add_f64 v[142:143], v[68:69], v[32:33]
	;; [unrolled: 1-line block ×4, first 2 shown]
	v_add_f64 v[156:157], v[13:14], -v[94:95]
	v_add_f64 v[158:159], v[18:19], -v[92:93]
	v_mul_lo_u16 v169, v12, 12
	v_fma_f64 v[88:89], v[8:9], -0.5, v[88:89]
	v_fma_f64 v[50:51], v[10:11], -0.5, v[90:91]
	v_add_f64 v[90:91], v[48:49], -v[40:41]
	v_add_f64 v[8:9], v[110:111], v[56:57]
	v_fma_f64 v[84:85], v[20:21], -0.5, v[84:85]
	v_fma_f64 v[54:55], v[22:23], -0.5, v[86:87]
	v_add_f64 v[86:87], v[52:53], -v[36:37]
	v_add_f64 v[10:11], v[112:113], v[58:59]
	v_fma_f64 v[80:81], v[102:103], -0.5, v[80:81]
	v_fma_f64 v[82:83], v[104:105], -0.5, v[82:83]
	v_add_f64 v[102:103], v[26:27], -v[30:31]
	v_add_f64 v[104:105], v[24:25], -v[28:29]
	v_fma_f64 v[76:77], v[106:107], -0.5, v[76:77]
	v_fma_f64 v[78:79], v[108:109], -0.5, v[78:79]
	v_add_f64 v[106:107], v[16:17], -v[34:35]
	v_fma_f64 v[114:115], v[114:115], -0.5, v[72:73]
	v_add_f64 v[108:109], v[32:33], -v[100:101]
	v_fma_f64 v[118:119], v[118:119], -0.5, v[74:75]
	v_add_f64 v[18:19], v[132:133], v[36:37]
	v_fma_f64 v[122:123], v[122:123], -0.5, v[68:69]
	v_add_f64 v[22:23], v[138:139], v[28:29]
	;; [unrolled: 2-line block ×5, first 2 shown]
	v_add_f64 v[20:21], v[136:137], v[38:39]
	v_add_f64 v[6:7], v[120:121], v[46:47]
	;; [unrolled: 1-line block ×3, first 2 shown]
	v_lshrrev_b16 v13, 11, v160
	v_add_f64 v[24:25], v[140:141], v[30:31]
	v_add_f64 v[26:27], v[142:143], v[100:101]
	;; [unrolled: 1-line block ×4, first 2 shown]
	v_sub_nc_u16 v42, v96, v169
	v_mul_lo_u16 v46, v13, 12
	v_lshl_add_u32 v43, v162, 4, 0
	v_fma_f64 v[34:35], v[62:63], s[0:1], v[88:89]
	v_fma_f64 v[36:37], v[60:61], s[2:3], v[50:51]
	;; [unrolled: 1-line block ×28, first 2 shown]
	v_and_b32_e32 v44, 0xff, v42
	v_lshrrev_b16 v45, 11, v161
	v_sub_nc_u16 v46, v97, v46
	v_lshl_add_u32 v95, v163, 4, 0
	v_lshl_add_u32 v42, v164, 4, 0
	v_mul_u32_u24_e32 v102, 6, v44
	v_mul_lo_u16 v105, v45, 12
	v_and_b32_e32 v46, 0xff, v46
	v_lshl_add_u32 v100, v165, 4, 0
	v_lshl_add_u32 v101, v166, 4, 0
	v_lshlrev_b32_e32 v102, 4, v102
	v_lshl_add_u32 v103, v167, 4, 0
	v_lshl_add_u32 v104, v168, 4, 0
	ds_store_b128 v43, v[8:11]
	ds_store_b128 v43, v[34:37] offset:64
	ds_store_b128 v43, v[38:41] offset:128
	ds_store_b128 v95, v[4:7]
	ds_store_b128 v95, v[47:50] offset:64
	ds_store_b128 v95, v[51:54] offset:128
	;; [unrolled: 3-line block ×7, first 2 shown]
	v_sub_nc_u16 v4, v153, v105
	v_mul_u32_u24_e32 v5, 6, v46
	s_waitcnt lgkmcnt(0)
	s_barrier
	buffer_gl0_inv
	s_clause 0x3
	global_load_b128 v[8:11], v102, s[4:5] offset:160
	global_load_b128 v[14:17], v102, s[4:5] offset:176
	;; [unrolled: 1-line block ×4, first 2 shown]
	v_and_b32_e32 v47, 0xff, v4
	v_lshlrev_b32_e32 v4, 4, v5
	s_clause 0x3
	global_load_b128 v[26:29], v102, s[4:5] offset:192
	global_load_b128 v[30:33], v102, s[4:5] offset:208
	;; [unrolled: 1-line block ×4, first 2 shown]
	v_mul_u32_u24_e32 v5, 6, v47
	s_mov_b32 s0, 0x36b3c0b5
	s_mov_b32 s2, 0x429ad128
	;; [unrolled: 1-line block ×4, first 2 shown]
	v_lshlrev_b32_e32 v5, 4, v5
	s_clause 0x9
	global_load_b128 v[48:51], v4, s[4:5] offset:240
	global_load_b128 v[52:55], v4, s[4:5] offset:224
	;; [unrolled: 1-line block ×10, first 2 shown]
	ds_load_b128 v[88:91], v152 offset:2112
	ds_load_b128 v[92:95], v152 offset:4224
	;; [unrolled: 1-line block ×19, first 2 shown]
	v_and_b32_e32 v45, 0xffff, v45
	v_lshlrev_b32_e32 v44, 4, v44
	v_lshlrev_b32_e32 v46, 4, v46
	;; [unrolled: 1-line block ×3, first 2 shown]
	s_delay_alu instid0(VALU_DEP_4) | instskip(NEXT) | instid1(VALU_DEP_1)
	v_mul_u32_u24_e32 v45, 0x540, v45
	v_add3_u32 v45, 0, v45, v47
	s_waitcnt vmcnt(17) lgkmcnt(18)
	v_mul_f64 v[42:43], v[90:91], v[10:11]
	v_mul_f64 v[10:11], v[88:89], v[10:11]
	s_waitcnt vmcnt(16) lgkmcnt(17)
	v_mul_f64 v[165:166], v[94:95], v[16:17]
	v_mul_f64 v[16:17], v[92:93], v[16:17]
	s_waitcnt vmcnt(15) lgkmcnt(16)
	v_mul_f64 v[167:168], v[102:103], v[20:21]
	s_waitcnt vmcnt(14) lgkmcnt(15)
	v_mul_f64 v[169:170], v[106:107], v[24:25]
	v_mul_f64 v[24:25], v[104:105], v[24:25]
	;; [unrolled: 1-line block ×3, first 2 shown]
	s_waitcnt vmcnt(13) lgkmcnt(12)
	v_mul_f64 v[171:172], v[114:115], v[28:29]
	v_mul_f64 v[28:29], v[112:113], v[28:29]
	s_waitcnt vmcnt(12) lgkmcnt(10)
	v_mul_f64 v[173:174], v[122:123], v[32:33]
	v_mul_f64 v[32:33], v[120:121], v[32:33]
	;; [unrolled: 3-line block ×3, first 2 shown]
	s_waitcnt vmcnt(10)
	v_mul_f64 v[177:178], v[110:111], v[40:41]
	v_mul_f64 v[40:41], v[108:109], v[40:41]
	s_waitcnt vmcnt(9) lgkmcnt(6)
	v_mul_f64 v[179:180], v[138:139], v[50:51]
	v_mul_f64 v[50:51], v[136:137], v[50:51]
	s_waitcnt vmcnt(8) lgkmcnt(4)
	v_mul_f64 v[181:182], v[146:147], v[54:55]
	v_mul_f64 v[54:55], v[144:145], v[54:55]
	s_waitcnt vmcnt(7)
	v_mul_f64 v[183:184], v[142:143], v[58:59]
	v_mul_f64 v[58:59], v[140:141], v[58:59]
	s_waitcnt vmcnt(6)
	v_mul_f64 v[185:186], v[118:119], v[62:63]
	v_mul_f64 v[62:63], v[116:117], v[62:63]
	s_waitcnt vmcnt(5) lgkmcnt(2)
	v_mul_f64 v[187:188], v[155:156], v[66:67]
	v_mul_f64 v[66:67], v[153:154], v[66:67]
	s_waitcnt vmcnt(4)
	v_mul_f64 v[189:190], v[150:151], v[70:71]
	v_mul_f64 v[70:71], v[148:149], v[70:71]
	s_waitcnt vmcnt(3) lgkmcnt(1)
	;; [unrolled: 6-line block ×3, first 2 shown]
	v_mul_f64 v[195:196], v[163:164], v[82:83]
	v_mul_f64 v[82:83], v[161:162], v[82:83]
	s_waitcnt vmcnt(0)
	v_mul_f64 v[197:198], v[130:131], v[86:87]
	v_fma_f64 v[42:43], v[88:89], v[8:9], v[42:43]
	v_fma_f64 v[8:9], v[90:91], v[8:9], -v[10:11]
	v_fma_f64 v[10:11], v[92:93], v[14:15], v[165:166]
	v_fma_f64 v[14:15], v[94:95], v[14:15], -v[16:17]
	;; [unrolled: 2-line block ×4, first 2 shown]
	v_mul_f64 v[20:21], v[128:129], v[86:87]
	v_fma_f64 v[86:87], v[112:113], v[26:27], v[171:172]
	v_fma_f64 v[26:27], v[114:115], v[26:27], -v[28:29]
	v_fma_f64 v[28:29], v[120:121], v[30:31], v[173:174]
	v_fma_f64 v[30:31], v[122:123], v[30:31], -v[32:33]
	;; [unrolled: 2-line block ×13, first 2 shown]
	v_fma_f64 v[82:83], v[128:129], v[84:85], v[197:198]
	v_add_f64 v[78:79], v[42:43], v[16:17]
	v_add_f64 v[88:89], v[8:9], v[22:23]
	;; [unrolled: 1-line block ×4, first 2 shown]
	v_fma_f64 v[20:21], v[130:131], v[84:85], -v[20:21]
	v_add_f64 v[24:25], v[10:11], -v[24:25]
	v_add_f64 v[18:19], v[14:15], -v[18:19]
	v_add_f64 v[106:107], v[86:87], v[28:29]
	v_add_f64 v[108:109], v[26:27], v[30:31]
	v_add_f64 v[28:29], v[28:29], -v[86:87]
	v_add_f64 v[26:27], v[30:31], -v[26:27]
	;; [unrolled: 1-line block ×4, first 2 shown]
	v_add_f64 v[84:85], v[32:33], v[40:41]
	v_add_f64 v[100:101], v[34:35], v[48:49]
	v_add_f64 v[102:103], v[36:37], v[50:51]
	v_add_f64 v[104:105], v[38:39], v[52:53]
	v_add_f64 v[36:37], v[36:37], -v[50:51]
	v_add_f64 v[38:39], v[38:39], -v[52:53]
	;; [unrolled: 1-line block ×4, first 2 shown]
	v_add_f64 v[110:111], v[54:55], v[62:63]
	v_add_f64 v[112:113], v[56:57], v[64:65]
	;; [unrolled: 1-line block ×4, first 2 shown]
	v_add_f64 v[56:57], v[56:57], -v[64:65]
	v_add_f64 v[48:49], v[58:59], -v[66:67]
	v_add_f64 v[42:43], v[70:71], v[74:75]
	v_add_f64 v[50:51], v[74:75], -v[70:71]
	v_add_f64 v[86:87], v[72:73], v[76:77]
	v_add_f64 v[72:73], v[76:77], -v[72:73]
	v_add_f64 v[40:41], v[54:55], -v[62:63]
	;; [unrolled: 1-line block ×3, first 2 shown]
	v_add_f64 v[58:59], v[94:95], v[82:83]
	v_add_f64 v[62:63], v[82:83], -v[94:95]
	ds_load_b128 v[8:11], v152
	ds_load_b128 v[14:17], v152 offset:704
	s_waitcnt lgkmcnt(0)
	s_barrier
	buffer_gl0_inv
	v_add_f64 v[52:53], v[90:91], v[78:79]
	v_add_f64 v[70:71], v[92:93], v[88:89]
	;; [unrolled: 1-line block ×3, first 2 shown]
	v_add_f64 v[20:21], v[20:21], -v[80:81]
	v_add_f64 v[68:69], v[90:91], -v[78:79]
	;; [unrolled: 1-line block ×7, first 2 shown]
	v_add_f64 v[92:93], v[28:29], v[24:25]
	v_add_f64 v[94:95], v[26:27], v[18:19]
	v_add_f64 v[118:119], v[28:29], -v[24:25]
	v_add_f64 v[64:65], v[102:103], v[84:85]
	v_add_f64 v[66:67], v[104:105], v[100:101]
	v_add_f64 v[120:121], v[26:27], -v[18:19]
	v_add_f64 v[18:19], v[18:19], -v[22:23]
	;; [unrolled: 1-line block ×6, first 2 shown]
	v_add_f64 v[82:83], v[114:115], v[110:111]
	v_add_f64 v[88:89], v[116:117], v[112:113]
	v_add_f64 v[132:133], v[114:115], -v[110:111]
	v_add_f64 v[134:135], v[116:117], -v[112:113]
	;; [unrolled: 1-line block ×5, first 2 shown]
	v_add_f64 v[126:127], v[50:51], v[36:37]
	v_add_f64 v[128:129], v[72:73], -v[38:39]
	v_add_f64 v[104:105], v[86:87], -v[104:105]
	;; [unrolled: 1-line block ×3, first 2 shown]
	v_add_f64 v[136:137], v[62:63], v[48:49]
	v_add_f64 v[142:143], v[54:55], -v[56:57]
	v_add_f64 v[26:27], v[22:23], -v[26:27]
	;; [unrolled: 1-line block ×3, first 2 shown]
	v_add_f64 v[106:107], v[106:107], v[52:53]
	v_add_f64 v[70:71], v[108:109], v[70:71]
	;; [unrolled: 1-line block ×3, first 2 shown]
	v_add_f64 v[108:109], v[50:51], -v[36:37]
	v_add_f64 v[36:37], v[36:37], -v[32:33]
	;; [unrolled: 1-line block ×5, first 2 shown]
	v_mul_f64 v[76:77], v[76:77], s[14:15]
	v_mul_f64 v[78:79], v[78:79], s[14:15]
	v_add_f64 v[30:31], v[92:93], v[30:31]
	v_add_f64 v[22:23], v[94:95], v[22:23]
	v_mul_f64 v[118:119], v[118:119], s[16:17]
	v_add_f64 v[42:43], v[42:43], v[64:65]
	v_add_f64 v[64:65], v[86:87], v[66:67]
	;; [unrolled: 1-line block ×3, first 2 shown]
	v_add_f64 v[86:87], v[110:111], -v[58:59]
	v_add_f64 v[110:111], v[112:113], -v[60:61]
	;; [unrolled: 1-line block ×4, first 2 shown]
	v_mul_f64 v[92:93], v[120:121], s[16:17]
	v_add_f64 v[58:59], v[58:59], v[82:83]
	v_add_f64 v[60:61], v[60:61], v[88:89]
	v_mul_f64 v[82:83], v[80:81], s[0:1]
	v_mul_f64 v[88:89], v[90:91], s[0:1]
	;; [unrolled: 1-line block ×4, first 2 shown]
	v_add_f64 v[72:73], v[34:35], -v[72:73]
	v_mul_f64 v[84:85], v[84:85], s[14:15]
	v_mul_f64 v[100:101], v[100:101], s[14:15]
	v_add_f64 v[32:33], v[126:127], v[32:33]
	v_mul_f64 v[126:127], v[128:129], s[16:17]
	v_mul_f64 v[144:145], v[102:103], s[0:1]
	;; [unrolled: 1-line block ×3, first 2 shown]
	v_add_f64 v[62:63], v[40:41], -v[62:63]
	v_add_f64 v[20:21], v[56:57], -v[20:21]
	v_add_f64 v[40:41], v[136:137], v[40:41]
	v_mul_f64 v[136:137], v[142:143], s[2:3]
	v_add_f64 v[48:49], v[8:9], v[106:107]
	v_add_f64 v[50:51], v[10:11], v[70:71]
	v_add_f64 v[34:35], v[52:53], v[34:35]
	v_mul_f64 v[108:109], v[108:109], s[16:17]
	v_mul_f64 v[128:129], v[36:37], s[2:3]
	;; [unrolled: 1-line block ×3, first 2 shown]
	v_fma_f64 v[24:25], v[24:25], s[2:3], -v[118:119]
	v_add_f64 v[52:53], v[14:15], v[42:43]
	v_add_f64 v[54:55], v[16:17], v[64:65]
	;; [unrolled: 1-line block ×3, first 2 shown]
	v_mul_f64 v[16:17], v[86:87], s[14:15]
	v_mul_f64 v[56:57], v[110:111], s[14:15]
	;; [unrolled: 1-line block ×5, first 2 shown]
	v_add_f64 v[8:9], v[4:5], v[58:59]
	v_add_f64 v[10:11], v[6:7], v[60:61]
	v_mul_f64 v[66:67], v[112:113], s[0:1]
	v_mul_f64 v[138:139], v[116:117], s[0:1]
	v_fma_f64 v[4:5], v[80:81], s[0:1], v[76:77]
	v_fma_f64 v[6:7], v[68:69], s[10:11], -v[82:83]
	v_fma_f64 v[68:69], v[68:69], s[12:13], -v[76:77]
	v_fma_f64 v[76:77], v[90:91], s[0:1], v[78:79]
	v_fma_f64 v[80:81], v[74:75], s[10:11], -v[88:89]
	v_fma_f64 v[74:75], v[74:75], s[12:13], -v[78:79]
	v_fma_f64 v[78:79], v[28:29], s[20:21], v[118:119]
	v_fma_f64 v[82:83], v[26:27], s[20:21], v[92:93]
	v_fma_f64 v[18:19], v[18:19], s[2:3], -v[92:93]
	v_fma_f64 v[26:27], v[26:27], s[18:19], -v[120:121]
	;; [unrolled: 1-line block ×3, first 2 shown]
	v_fma_f64 v[88:89], v[102:103], s[0:1], v[84:85]
	v_fma_f64 v[92:93], v[104:105], s[0:1], v[100:101]
	;; [unrolled: 1-line block ×6, first 2 shown]
	v_fma_f64 v[36:37], v[36:37], s[2:3], -v[108:109]
	v_fma_f64 v[108:109], v[130:131], s[18:19], -v[128:129]
	v_fma_f64 v[84:85], v[122:123], s[12:13], -v[84:85]
	v_fma_f64 v[38:39], v[38:39], s[2:3], -v[126:127]
	v_fma_f64 v[72:73], v[72:73], s[18:19], -v[148:149]
	v_fma_f64 v[100:101], v[124:125], s[12:13], -v[100:101]
	v_fma_f64 v[94:95], v[122:123], s[10:11], -v[144:145]
	v_fma_f64 v[102:103], v[124:125], s[10:11], -v[146:147]
	v_fma_f64 v[42:43], v[42:43], s[6:7], v[52:53]
	v_fma_f64 v[64:65], v[64:65], s[6:7], v[54:55]
	;; [unrolled: 1-line block ×6, first 2 shown]
	v_fma_f64 v[86:87], v[140:141], s[2:3], -v[86:87]
	v_fma_f64 v[58:59], v[58:59], s[6:7], v[8:9]
	v_fma_f64 v[60:61], v[60:61], s[6:7], v[10:11]
	v_fma_f64 v[62:63], v[62:63], s[18:19], -v[114:115]
	v_fma_f64 v[20:21], v[20:21], s[18:19], -v[136:137]
	;; [unrolled: 1-line block ×7, first 2 shown]
	s_mov_b32 s0, 0x37c3f68c
	s_mov_b32 s1, 0xbfdc38aa
	v_and_b32_e32 v132, 0xffff, v12
	v_fma_f64 v[78:79], v[30:31], s[0:1], v[78:79]
	v_fma_f64 v[82:83], v[22:23], s[0:1], v[82:83]
	;; [unrolled: 1-line block ×5, first 2 shown]
	v_add_f64 v[4:5], v[4:5], v[90:91]
	v_add_f64 v[26:27], v[76:77], v[70:71]
	v_fma_f64 v[28:29], v[30:31], s[0:1], v[28:29]
	v_add_f64 v[30:31], v[68:69], v[90:91]
	v_add_f64 v[74:75], v[74:75], v[70:71]
	;; [unrolled: 1-line block ×4, first 2 shown]
	v_fma_f64 v[104:105], v[32:33], s[0:1], v[104:105]
	v_fma_f64 v[106:107], v[34:35], s[0:1], v[106:107]
	;; [unrolled: 1-line block ×6, first 2 shown]
	v_add_f64 v[108:109], v[88:89], v[42:43]
	v_add_f64 v[92:93], v[92:93], v[64:65]
	;; [unrolled: 1-line block ×6, first 2 shown]
	v_fma_f64 v[102:103], v[40:41], s[0:1], v[118:119]
	v_fma_f64 v[118:119], v[14:15], s[0:1], v[120:121]
	v_add_f64 v[112:113], v[112:113], v[58:59]
	v_add_f64 v[116:117], v[116:117], v[60:61]
	v_fma_f64 v[120:121], v[40:41], s[0:1], v[86:87]
	v_fma_f64 v[40:41], v[40:41], s[0:1], v[62:63]
	v_fma_f64 v[124:125], v[14:15], s[0:1], v[20:21]
	v_add_f64 v[126:127], v[16:17], v[58:59]
	v_add_f64 v[128:129], v[56:57], v[60:61]
	v_fma_f64 v[110:111], v[14:15], s[0:1], v[110:111]
	v_add_f64 v[130:131], v[66:67], v[58:59]
	v_add_f64 v[114:115], v[114:115], v[60:61]
	v_and_b32_e32 v133, 0xffff, v13
	v_cmp_gt_u32_e64 s0, 40, v96
	v_add_f64 v[56:57], v[82:83], v[4:5]
	v_add_f64 v[58:59], v[26:27], -v[78:79]
	v_add_f64 v[76:77], v[4:5], -v[82:83]
	v_add_f64 v[60:61], v[22:23], v[30:31]
	v_add_f64 v[62:63], v[74:75], -v[28:29]
	v_add_f64 v[64:65], v[6:7], -v[18:19]
	v_add_f64 v[66:67], v[24:25], v[70:71]
	v_add_f64 v[68:69], v[18:19], v[6:7]
	v_add_f64 v[70:71], v[70:71], -v[24:25]
	v_add_f64 v[72:73], v[30:31], -v[22:23]
	v_add_f64 v[74:75], v[28:29], v[74:75]
	v_add_f64 v[78:79], v[78:79], v[26:27]
	;; [unrolled: 1-line block ×3, first 2 shown]
	v_add_f64 v[82:83], v[92:93], -v[104:105]
	v_add_f64 v[84:85], v[34:35], v[122:123]
	v_add_f64 v[86:87], v[100:101], -v[32:33]
	v_add_f64 v[88:89], v[42:43], -v[38:39]
	v_add_f64 v[90:91], v[36:37], v[94:95]
	v_add_f64 v[4:5], v[38:39], v[42:43]
	v_add_f64 v[6:7], v[94:95], -v[36:37]
	v_add_f64 v[16:17], v[122:123], -v[34:35]
	v_add_f64 v[18:19], v[32:33], v[100:101]
	v_add_f64 v[12:13], v[108:109], -v[106:107]
	v_add_f64 v[14:15], v[104:105], v[92:93]
	v_add_f64 v[20:21], v[118:119], v[112:113]
	v_add_f64 v[22:23], v[116:117], -v[102:103]
	v_add_f64 v[24:25], v[124:125], v[126:127]
	v_add_f64 v[26:27], v[128:129], -v[40:41]
	v_add_f64 v[28:29], v[130:131], -v[110:111]
	v_add_f64 v[30:31], v[120:121], v[114:115]
	v_add_f64 v[32:33], v[110:111], v[130:131]
	v_add_f64 v[34:35], v[114:115], -v[120:121]
	v_add_f64 v[36:37], v[126:127], -v[124:125]
	v_add_f64 v[38:39], v[40:41], v[128:129]
	v_add_f64 v[40:41], v[112:113], -v[118:119]
	v_add_f64 v[42:43], v[102:103], v[116:117]
	v_mul_u32_u24_e32 v92, 0x540, v132
	v_mul_u32_u24_e32 v93, 0x540, v133
	s_delay_alu instid0(VALU_DEP_2) | instskip(NEXT) | instid1(VALU_DEP_2)
	v_add3_u32 v44, 0, v92, v44
	v_add3_u32 v46, 0, v93, v46
	ds_store_b128 v44, v[48:51]
	ds_store_b128 v44, v[56:59] offset:192
	ds_store_b128 v44, v[60:63] offset:384
	ds_store_b128 v44, v[64:67] offset:576
	ds_store_b128 v44, v[68:71] offset:768
	ds_store_b128 v44, v[72:75] offset:960
	ds_store_b128 v44, v[76:79] offset:1152
	ds_store_b128 v46, v[52:55]
	ds_store_b128 v46, v[80:83] offset:192
	ds_store_b128 v46, v[84:87] offset:384
	ds_store_b128 v46, v[88:91] offset:576
	ds_store_b128 v46, v[4:7] offset:768
	ds_store_b128 v46, v[16:19] offset:960
	ds_store_b128 v46, v[12:15] offset:1152
	;; [unrolled: 7-line block ×3, first 2 shown]
	s_waitcnt lgkmcnt(0)
	s_barrier
	buffer_gl0_inv
	ds_load_b128 v[44:47], v152
	ds_load_b128 v[84:87], v152 offset:1344
	ds_load_b128 v[80:83], v152 offset:2688
	;; [unrolled: 1-line block ×10, first 2 shown]
	s_and_saveexec_b32 s1, s0
	s_cbranch_execz .LBB0_27
; %bb.26:
	ds_load_b128 v[4:7], v152 offset:704
	ds_load_b128 v[16:19], v152 offset:2048
	;; [unrolled: 1-line block ×11, first 2 shown]
.LBB0_27:
	s_or_b32 exec_lo, exec_lo, s1
	v_mul_u32_u24_e32 v88, 10, v96
	s_mov_b32 s10, 0xf8bb580b
	s_mov_b32 s2, 0x8764f0ba
	;; [unrolled: 1-line block ×4, first 2 shown]
	v_lshlrev_b32_e32 v128, 4, v88
	s_mov_b32 s11, 0xbfe14ced
	s_mov_b32 s3, 0x3feaeb8c
	;; [unrolled: 1-line block ×4, first 2 shown]
	s_clause 0x9
	global_load_b128 v[88:91], v128, s[4:5] offset:1312
	global_load_b128 v[92:95], v128, s[4:5] offset:1456
	;; [unrolled: 1-line block ×10, first 2 shown]
	s_mov_b32 s18, 0x43842ef
	s_mov_b32 s24, 0x640f44db
	;; [unrolled: 1-line block ×22, first 2 shown]
	s_waitcnt vmcnt(0) lgkmcnt(0)
	s_barrier
	buffer_gl0_inv
	v_mul_f64 v[132:133], v[86:87], v[90:91]
	v_mul_f64 v[90:91], v[84:85], v[90:91]
	;; [unrolled: 1-line block ×14, first 2 shown]
	v_fma_f64 v[84:85], v[84:85], v[88:89], v[132:133]
	v_fma_f64 v[86:87], v[86:87], v[88:89], -v[90:91]
	v_mul_f64 v[88:89], v[64:65], v[110:111]
	v_mul_f64 v[90:91], v[68:69], v[114:115]
	;; [unrolled: 1-line block ×5, first 2 shown]
	v_fma_f64 v[78:79], v[78:79], v[92:93], -v[134:135]
	v_fma_f64 v[134:135], v[82:83], v[100:101], -v[136:137]
	v_fma_f64 v[80:81], v[80:81], v[100:101], v[102:103]
	v_mul_f64 v[118:119], v[60:61], v[118:119]
	v_fma_f64 v[74:75], v[74:75], v[104:105], -v[138:139]
	v_fma_f64 v[56:57], v[56:57], v[120:121], v[140:141]
	v_fma_f64 v[58:59], v[58:59], v[120:121], -v[122:123]
	v_fma_f64 v[82:83], v[48:49], v[124:125], v[126:127]
	v_fma_f64 v[48:49], v[52:53], v[128:129], v[130:131]
	v_add_f64 v[100:101], v[44:45], v[84:85]
	v_add_f64 v[102:103], v[46:47], v[86:87]
	v_fma_f64 v[136:137], v[66:67], v[108:109], -v[88:89]
	v_fma_f64 v[66:67], v[76:77], v[92:93], v[94:95]
	v_fma_f64 v[92:93], v[64:65], v[108:109], v[110:111]
	;; [unrolled: 1-line block ×5, first 2 shown]
	v_add_f64 v[94:95], v[86:87], -v[78:79]
	v_add_f64 v[104:105], v[86:87], v[78:79]
	v_fma_f64 v[68:69], v[62:63], v[116:117], -v[118:119]
	v_fma_f64 v[62:63], v[50:51], v[124:125], -v[142:143]
	;; [unrolled: 1-line block ×4, first 2 shown]
	v_add_f64 v[106:107], v[134:135], -v[74:75]
	v_add_f64 v[108:109], v[134:135], v[74:75]
	v_add_f64 v[122:123], v[82:83], v[48:49]
	v_add_f64 v[124:125], v[82:83], -v[48:49]
	v_add_f64 v[100:101], v[100:101], v[80:81]
	v_add_f64 v[102:103], v[102:103], v[134:135]
	;; [unrolled: 1-line block ×3, first 2 shown]
	v_add_f64 v[90:91], v[84:85], -v[66:67]
	v_add_f64 v[84:85], v[80:81], v[64:65]
	v_add_f64 v[86:87], v[80:81], -v[64:65]
	v_add_f64 v[54:55], v[92:93], v[60:61]
	v_add_f64 v[52:53], v[92:93], -v[60:61]
	v_mul_f64 v[126:127], v[94:95], s[10:11]
	v_mul_f64 v[128:129], v[104:105], s[2:3]
	;; [unrolled: 1-line block ×3, first 2 shown]
	v_add_f64 v[118:119], v[62:63], v[50:51]
	v_mul_f64 v[132:133], v[104:105], s[6:7]
	v_mul_f64 v[134:135], v[94:95], s[18:19]
	;; [unrolled: 1-line block ×7, first 2 shown]
	v_add_f64 v[76:77], v[72:73], v[56:57]
	v_add_f64 v[114:115], v[68:69], v[58:59]
	v_add_f64 v[116:117], v[68:69], -v[58:59]
	v_add_f64 v[80:81], v[72:73], -v[56:57]
	;; [unrolled: 1-line block ×3, first 2 shown]
	v_add_f64 v[112:113], v[136:137], v[70:71]
	v_mul_f64 v[144:145], v[106:107], s[12:13]
	v_mul_f64 v[146:147], v[108:109], s[6:7]
	;; [unrolled: 1-line block ×6, first 2 shown]
	v_add_f64 v[120:121], v[62:63], -v[50:51]
	v_add_f64 v[92:93], v[100:101], v[92:93]
	v_add_f64 v[100:101], v[102:103], v[136:137]
	v_mul_f64 v[102:103], v[108:109], s[14:15]
	v_mul_f64 v[136:137], v[106:107], s[34:35]
	;; [unrolled: 1-line block ×4, first 2 shown]
	v_fma_f64 v[205:206], v[88:89], s[6:7], v[130:131]
	v_mul_f64 v[191:192], v[118:119], s[16:17]
	v_mul_f64 v[195:196], v[118:119], s[2:3]
	;; [unrolled: 1-line block ×4, first 2 shown]
	v_fma_f64 v[207:208], v[90:91], s[22:23], v[132:133]
	v_fma_f64 v[130:131], v[88:89], s[6:7], -v[130:131]
	v_fma_f64 v[132:133], v[90:91], s[12:13], v[132:133]
	v_fma_f64 v[209:210], v[88:89], s[24:25], v[134:135]
	;; [unrolled: 1-line block ×3, first 2 shown]
	v_fma_f64 v[134:135], v[88:89], s[24:25], -v[134:135]
	v_fma_f64 v[213:214], v[88:89], s[14:15], v[140:141]
	v_fma_f64 v[215:216], v[90:91], s[36:37], v[142:143]
	v_fma_f64 v[140:141], v[88:89], s[14:15], -v[140:141]
	v_fma_f64 v[217:218], v[88:89], s[16:17], v[94:95]
	v_fma_f64 v[219:220], v[90:91], s[34:35], v[104:105]
	;; [unrolled: 1-line block ×4, first 2 shown]
	v_mul_f64 v[157:158], v[110:111], s[18:19]
	v_mul_f64 v[161:162], v[110:111], s[34:35]
	;; [unrolled: 1-line block ×3, first 2 shown]
	v_fma_f64 v[221:222], v[84:85], s[14:15], v[148:149]
	v_mul_f64 v[165:166], v[110:111], s[22:23]
	v_mul_f64 v[167:168], v[112:113], s[6:7]
	v_fma_f64 v[148:149], v[84:85], s[14:15], -v[148:149]
	v_fma_f64 v[227:228], v[86:87], s[28:29], v[150:151]
	v_mul_f64 v[159:160], v[112:113], s[24:25]
	v_add_f64 v[72:73], v[92:93], v[72:73]
	v_add_f64 v[68:69], v[100:101], v[68:69]
	v_mul_f64 v[92:93], v[118:119], s[24:25]
	v_fma_f64 v[100:101], v[88:89], s[2:3], v[126:127]
	v_fma_f64 v[118:119], v[90:91], s[20:21], v[128:129]
	v_fma_f64 v[126:127], v[88:89], s[2:3], -v[126:127]
	v_fma_f64 v[128:129], v[90:91], s[10:11], v[128:129]
	v_fma_f64 v[88:89], v[88:89], s[16:17], -v[94:95]
	v_fma_f64 v[90:91], v[90:91], s[28:29], v[104:105]
	v_fma_f64 v[94:95], v[84:85], s[6:7], v[144:145]
	;; [unrolled: 1-line block ×4, first 2 shown]
	v_add_f64 v[205:206], v[44:45], v[205:206]
	v_fma_f64 v[102:103], v[86:87], s[26:27], v[102:103]
	v_fma_f64 v[225:226], v[84:85], s[16:17], v[136:137]
	v_mul_f64 v[169:170], v[110:111], s[10:11]
	v_add_f64 v[207:208], v[46:47], v[207:208]
	v_add_f64 v[130:131], v[44:45], v[130:131]
	;; [unrolled: 1-line block ×5, first 2 shown]
	v_mul_f64 v[171:172], v[112:113], s[2:3]
	v_fma_f64 v[136:137], v[84:85], s[16:17], -v[136:137]
	v_fma_f64 v[229:230], v[84:85], s[24:25], v[153:154]
	v_fma_f64 v[231:232], v[86:87], s[18:19], v[155:156]
	v_add_f64 v[134:135], v[44:45], v[134:135]
	v_add_f64 v[213:214], v[44:45], v[213:214]
	;; [unrolled: 1-line block ×3, first 2 shown]
	v_mul_f64 v[110:111], v[110:111], s[26:27]
	v_mul_f64 v[112:113], v[112:113], s[14:15]
	v_fma_f64 v[153:154], v[84:85], s[24:25], -v[153:154]
	v_add_f64 v[140:141], v[44:45], v[140:141]
	v_add_f64 v[217:218], v[44:45], v[217:218]
	;; [unrolled: 1-line block ×3, first 2 shown]
	v_fma_f64 v[144:145], v[84:85], s[6:7], -v[144:145]
	v_fma_f64 v[146:147], v[86:87], s[12:13], v[146:147]
	v_fma_f64 v[150:151], v[86:87], s[34:35], v[150:151]
	v_add_f64 v[142:143], v[46:47], v[142:143]
	v_add_f64 v[72:73], v[72:73], v[82:83]
	;; [unrolled: 1-line block ×3, first 2 shown]
	v_fma_f64 v[68:69], v[86:87], s[30:31], v[155:156]
	v_add_f64 v[100:101], v[44:45], v[100:101]
	v_add_f64 v[118:119], v[46:47], v[118:119]
	v_fma_f64 v[82:83], v[84:85], s[2:3], v[106:107]
	v_fma_f64 v[155:156], v[86:87], s[10:11], v[108:109]
	v_fma_f64 v[84:85], v[84:85], s[2:3], -v[106:107]
	v_fma_f64 v[86:87], v[86:87], s[20:21], v[108:109]
	v_add_f64 v[88:89], v[44:45], v[88:89]
	v_add_f64 v[90:91], v[46:47], v[90:91]
	;; [unrolled: 1-line block ×5, first 2 shown]
	v_mul_f64 v[177:178], v[116:117], s[30:31]
	v_mul_f64 v[179:180], v[114:115], s[24:25]
	v_fma_f64 v[106:107], v[54:55], s[24:25], v[157:158]
	v_fma_f64 v[233:234], v[54:55], s[16:17], v[161:162]
	;; [unrolled: 1-line block ×3, first 2 shown]
	v_mul_f64 v[181:182], v[116:117], s[10:11]
	v_mul_f64 v[183:184], v[114:115], s[2:3]
	v_fma_f64 v[237:238], v[54:55], s[6:7], v[165:166]
	v_add_f64 v[130:131], v[148:149], v[130:131]
	v_add_f64 v[102:103], v[102:103], v[132:133]
	;; [unrolled: 1-line block ×4, first 2 shown]
	v_mul_f64 v[173:174], v[116:117], s[26:27]
	v_mul_f64 v[185:186], v[116:117], s[28:29]
	;; [unrolled: 1-line block ×3, first 2 shown]
	v_fma_f64 v[108:109], v[52:53], s[30:31], v[159:160]
	v_fma_f64 v[161:162], v[54:55], s[16:17], -v[161:162]
	v_fma_f64 v[165:166], v[54:55], s[6:7], -v[165:166]
	v_fma_f64 v[239:240], v[54:55], s[2:3], v[169:170]
	v_fma_f64 v[126:127], v[52:53], s[20:21], v[171:172]
	v_add_f64 v[134:135], v[136:137], v[134:135]
	v_add_f64 v[136:137], v[229:230], v[213:214]
	v_mul_f64 v[175:176], v[114:115], s[14:15]
	v_mul_f64 v[116:117], v[116:117], s[22:23]
	v_add_f64 v[48:49], v[72:73], v[48:49]
	v_add_f64 v[50:51], v[62:63], v[50:51]
	v_fma_f64 v[72:73], v[52:53], s[12:13], v[167:168]
	v_add_f64 v[94:95], v[94:95], v[100:101]
	v_add_f64 v[100:101], v[104:105], v[118:119]
	v_add_f64 v[104:105], v[221:222], v[205:206]
	v_add_f64 v[118:119], v[223:224], v[207:208]
	v_add_f64 v[205:206], v[231:232], v[215:216]
	v_mul_f64 v[114:115], v[114:115], s[6:7]
	v_fma_f64 v[157:158], v[54:55], s[24:25], -v[157:158]
	v_fma_f64 v[169:170], v[54:55], s[2:3], -v[169:170]
	v_fma_f64 v[62:63], v[54:55], s[14:15], v[110:111]
	v_fma_f64 v[54:55], v[54:55], s[14:15], -v[110:111]
	v_fma_f64 v[110:111], v[52:53], s[22:23], v[167:168]
	v_fma_f64 v[167:168], v[52:53], s[36:37], v[112:113]
	v_add_f64 v[140:141], v[153:154], v[140:141]
	v_add_f64 v[82:83], v[82:83], v[217:218]
	;; [unrolled: 1-line block ×3, first 2 shown]
	v_fma_f64 v[159:160], v[52:53], s[18:19], v[159:160]
	v_fma_f64 v[163:164], v[52:53], s[34:35], v[163:164]
	;; [unrolled: 1-line block ×4, first 2 shown]
	v_add_f64 v[84:85], v[84:85], v[88:89]
	v_add_f64 v[86:87], v[86:87], v[90:91]
	;; [unrolled: 1-line block ×6, first 2 shown]
	v_mul_f64 v[193:194], v[120:121], s[20:21]
	v_fma_f64 v[241:242], v[76:77], s[24:25], v[177:178]
	v_fma_f64 v[243:244], v[80:81], s[18:19], v[179:180]
	v_mul_f64 v[197:198], v[120:121], s[26:27]
	v_mul_f64 v[201:202], v[120:121], s[22:23]
	v_fma_f64 v[112:113], v[76:77], s[14:15], v[173:174]
	v_fma_f64 v[90:91], v[76:77], s[2:3], -v[181:182]
	v_fma_f64 v[142:143], v[76:77], s[16:17], v[185:186]
	v_fma_f64 v[144:145], v[80:81], s[34:35], v[187:188]
	v_mul_f64 v[189:190], v[120:121], s[28:29]
	v_add_f64 v[48:49], v[48:49], v[56:57]
	v_add_f64 v[50:51], v[50:51], v[58:59]
	v_fma_f64 v[56:57], v[76:77], s[2:3], v[181:182]
	v_add_f64 v[94:95], v[106:107], v[94:95]
	v_fma_f64 v[58:59], v[80:81], s[20:21], v[183:184]
	v_add_f64 v[104:105], v[233:234], v[104:105]
	v_add_f64 v[106:107], v[235:236], v[118:119]
	;; [unrolled: 1-line block ×9, first 2 shown]
	v_mul_f64 v[120:121], v[120:121], s[18:19]
	v_fma_f64 v[173:174], v[76:77], s[14:15], -v[173:174]
	v_fma_f64 v[177:178], v[76:77], s[24:25], -v[177:178]
	;; [unrolled: 1-line block ×3, first 2 shown]
	v_fma_f64 v[155:156], v[76:77], s[6:7], v[116:117]
	v_fma_f64 v[76:77], v[76:77], s[6:7], -v[116:117]
	v_fma_f64 v[116:117], v[80:81], s[12:13], v[114:115]
	v_add_f64 v[62:63], v[62:63], v[82:83]
	v_add_f64 v[82:83], v[167:168], v[153:154]
	v_fma_f64 v[171:172], v[80:81], s[36:37], v[175:176]
	v_fma_f64 v[175:176], v[80:81], s[26:27], v[175:176]
	;; [unrolled: 1-line block ×6, first 2 shown]
	v_add_f64 v[54:55], v[54:55], v[84:85]
	v_add_f64 v[52:53], v[52:53], v[86:87]
	;; [unrolled: 1-line block ×8, first 2 shown]
	v_fma_f64 v[110:111], v[122:123], s[14:15], v[197:198]
	v_add_f64 v[48:49], v[48:49], v[60:61]
	v_add_f64 v[50:51], v[50:51], v[70:71]
	v_fma_f64 v[60:61], v[122:123], s[2:3], v[193:194]
	v_fma_f64 v[70:71], v[124:125], s[10:11], v[195:196]
	;; [unrolled: 1-line block ×3, first 2 shown]
	v_add_f64 v[104:105], v[241:242], v[104:105]
	v_add_f64 v[106:107], v[243:244], v[106:107]
	;; [unrolled: 1-line block ×4, first 2 shown]
	v_fma_f64 v[148:149], v[122:123], s[6:7], v[201:202]
	v_fma_f64 v[153:154], v[124:125], s[12:13], v[203:204]
	v_add_f64 v[94:95], v[112:113], v[94:95]
	v_add_f64 v[72:73], v[90:91], v[130:131]
	;; [unrolled: 1-line block ×4, first 2 shown]
	v_fma_f64 v[161:162], v[122:123], s[24:25], v[120:121]
	v_fma_f64 v[163:164], v[124:125], s[30:31], v[92:93]
	v_fma_f64 v[86:87], v[122:123], s[2:3], -v[193:194]
	v_fma_f64 v[120:121], v[122:123], s[24:25], -v[120:121]
	v_fma_f64 v[92:93], v[124:125], s[18:19], v[92:93]
	v_add_f64 v[108:109], v[177:178], v[108:109]
	v_add_f64 v[62:63], v[155:156], v[62:63]
	;; [unrolled: 1-line block ×3, first 2 shown]
	v_fma_f64 v[114:115], v[122:123], s[16:17], v[189:190]
	v_fma_f64 v[183:184], v[122:123], s[16:17], -v[189:190]
	v_fma_f64 v[136:137], v[122:123], s[14:15], -v[197:198]
	;; [unrolled: 1-line block ×3, first 2 shown]
	v_fma_f64 v[159:160], v[124:125], s[22:23], v[203:204]
	v_fma_f64 v[181:182], v[124:125], s[34:35], v[191:192]
	v_add_f64 v[76:77], v[76:77], v[54:55]
	v_add_f64 v[116:117], v[80:81], v[52:53]
	;; [unrolled: 1-line block ×4, first 2 shown]
	v_fma_f64 v[185:186], v[124:125], s[28:29], v[191:192]
	v_fma_f64 v[88:89], v[124:125], s[20:21], v[195:196]
	;; [unrolled: 1-line block ×3, first 2 shown]
	v_add_f64 v[124:125], v[138:139], v[84:85]
	v_add_f64 v[102:103], v[179:180], v[102:103]
	;; [unrolled: 1-line block ×29, first 2 shown]
	ds_store_b128 v152, v[48:51] offset:2688
	ds_store_b128 v152, v[56:59] offset:4032
	;; [unrolled: 1-line block ×9, first 2 shown]
	ds_store_b128 v152, v[76:79]
	ds_store_b128 v152, v[64:67] offset:13440
	s_and_saveexec_b32 s1, s0
	s_cbranch_execz .LBB0_29
; %bb.28:
	v_subrev_nc_u32_e32 v44, 40, v96
	v_mov_b32_e32 v45, 0
	s_delay_alu instid0(VALU_DEP_2) | instskip(NEXT) | instid1(VALU_DEP_1)
	v_cndmask_b32_e64 v44, v44, v97, s0
	v_mul_i32_i24_e32 v44, 10, v44
	s_delay_alu instid0(VALU_DEP_1) | instskip(NEXT) | instid1(VALU_DEP_1)
	v_lshlrev_b64 v[44:45], 4, v[44:45]
	v_add_co_u32 v80, s0, s4, v44
	s_delay_alu instid0(VALU_DEP_1)
	v_add_co_ci_u32_e64 v81, s0, s5, v45, s0
	s_clause 0x9
	global_load_b128 v[44:47], v[80:81], off offset:1312
	global_load_b128 v[48:51], v[80:81], off offset:1376
	global_load_b128 v[52:55], v[80:81], off offset:1392
	global_load_b128 v[56:59], v[80:81], off offset:1360
	global_load_b128 v[60:63], v[80:81], off offset:1408
	global_load_b128 v[64:67], v[80:81], off offset:1344
	global_load_b128 v[68:71], v[80:81], off offset:1424
	global_load_b128 v[72:75], v[80:81], off offset:1328
	global_load_b128 v[76:79], v[80:81], off offset:1440
	global_load_b128 v[80:83], v[80:81], off offset:1456
	s_waitcnt vmcnt(9)
	v_mul_f64 v[84:85], v[16:17], v[46:47]
	v_mul_f64 v[46:47], v[18:19], v[46:47]
	s_waitcnt vmcnt(7)
	v_mul_f64 v[88:89], v[30:31], v[54:55]
	s_waitcnt vmcnt(6)
	v_mul_f64 v[90:91], v[22:23], v[58:59]
	v_mul_f64 v[58:59], v[20:21], v[58:59]
	s_waitcnt vmcnt(4)
	v_mul_f64 v[94:95], v[10:11], v[66:67]
	s_waitcnt vmcnt(3)
	;; [unrolled: 2-line block ×4, first 2 shown]
	v_mul_f64 v[104:105], v[42:43], v[78:79]
	v_mul_f64 v[66:67], v[8:9], v[66:67]
	;; [unrolled: 1-line block ×5, first 2 shown]
	s_waitcnt vmcnt(0)
	v_mul_f64 v[106:107], v[2:3], v[82:83]
	v_mul_f64 v[82:83], v[0:1], v[82:83]
	;; [unrolled: 1-line block ×7, first 2 shown]
	v_fma_f64 v[18:19], v[18:19], v[44:45], -v[84:85]
	v_fma_f64 v[44:45], v[16:17], v[44:45], v[46:47]
	v_fma_f64 v[28:29], v[28:29], v[52:53], v[88:89]
	;; [unrolled: 1-line block ×3, first 2 shown]
	v_fma_f64 v[22:23], v[22:23], v[56:57], -v[58:59]
	v_fma_f64 v[46:47], v[8:9], v[64:65], v[94:95]
	v_fma_f64 v[16:17], v[36:37], v[68:69], v[100:101]
	;; [unrolled: 1-line block ×4, first 2 shown]
	v_fma_f64 v[40:41], v[10:11], v[64:65], -v[66:67]
	v_fma_f64 v[12:13], v[38:39], v[68:69], -v[70:71]
	;; [unrolled: 1-line block ×4, first 2 shown]
	v_fma_f64 v[0:1], v[0:1], v[80:81], v[106:107]
	v_fma_f64 v[2:3], v[2:3], v[80:81], -v[82:83]
	v_fma_f64 v[32:33], v[32:33], v[60:61], v[92:93]
	v_fma_f64 v[34:35], v[34:35], v[60:61], -v[62:63]
	v_fma_f64 v[30:31], v[30:31], v[52:53], -v[54:55]
	v_fma_f64 v[24:25], v[24:25], v[48:49], v[86:87]
	v_fma_f64 v[26:27], v[26:27], v[48:49], -v[50:51]
	v_add_f64 v[38:39], v[6:7], v[18:19]
	v_add_f64 v[42:43], v[4:5], v[44:45]
	v_add_f64 v[52:53], v[46:47], -v[16:17]
	v_add_f64 v[78:79], v[46:47], v[16:17]
	v_add_f64 v[54:55], v[36:37], -v[8:9]
	v_add_f64 v[62:63], v[40:41], -v[12:13]
	v_add_f64 v[72:73], v[40:41], v[12:13]
	v_add_f64 v[64:65], v[14:15], -v[10:11]
	v_add_f64 v[56:57], v[44:45], -v[0:1]
	;; [unrolled: 1-line block ×3, first 2 shown]
	v_add_f64 v[18:19], v[18:19], v[2:3]
	v_add_f64 v[44:45], v[44:45], v[0:1]
	v_add_f64 v[50:51], v[20:21], -v[32:33]
	v_add_f64 v[60:61], v[22:23], -v[34:35]
	v_add_f64 v[70:71], v[22:23], v[34:35]
	v_add_f64 v[76:77], v[20:21], v[32:33]
	v_add_f64 v[48:49], v[24:25], -v[28:29]
	v_add_f64 v[74:75], v[24:25], v[28:29]
	v_add_f64 v[58:59], v[26:27], -v[30:31]
	v_add_f64 v[68:69], v[26:27], v[30:31]
	v_add_f64 v[38:39], v[38:39], v[14:15]
	;; [unrolled: 1-line block ×5, first 2 shown]
	v_mul_f64 v[84:85], v[52:53], s[26:27]
	v_mul_f64 v[124:125], v[52:53], s[22:23]
	;; [unrolled: 1-line block ×32, first 2 shown]
	v_add_f64 v[38:39], v[38:39], v[40:41]
	v_add_f64 v[40:41], v[42:43], v[46:47]
	v_mul_f64 v[46:47], v[54:55], s[30:31]
	v_mul_f64 v[54:55], v[54:55], s[12:13]
	;; [unrolled: 1-line block ×4, first 2 shown]
	v_fma_f64 v[161:162], v[72:73], s[14:15], v[84:85]
	v_fma_f64 v[84:85], v[72:73], s[14:15], -v[84:85]
	v_fma_f64 v[163:164], v[14:15], s[2:3], v[86:87]
	v_fma_f64 v[86:87], v[14:15], s[2:3], -v[86:87]
	;; [unrolled: 2-line block ×3, first 2 shown]
	v_fma_f64 v[173:174], v[36:37], s[2:3], -v[100:101]
	v_fma_f64 v[165:166], v[18:19], s[16:17], v[88:89]
	v_fma_f64 v[175:176], v[44:45], s[16:17], -v[102:103]
	v_fma_f64 v[88:89], v[18:19], s[16:17], -v[88:89]
	v_fma_f64 v[102:103], v[44:45], s[16:17], v[102:103]
	v_fma_f64 v[177:178], v[18:19], s[14:15], v[108:109]
	v_fma_f64 v[179:180], v[44:45], s[14:15], -v[118:119]
	v_fma_f64 v[108:109], v[18:19], s[14:15], -v[108:109]
	v_fma_f64 v[118:119], v[44:45], s[14:15], v[118:119]
	v_fma_f64 v[181:182], v[18:19], s[24:25], v[128:129]
	v_fma_f64 v[183:184], v[18:19], s[6:7], -v[148:149]
	v_fma_f64 v[185:186], v[44:45], s[6:7], v[159:160]
	v_fma_f64 v[128:129], v[18:19], s[24:25], -v[128:129]
	;; [unrolled: 2-line block ×5, first 2 shown]
	v_fma_f64 v[100:101], v[36:37], s[2:3], v[100:101]
	v_fma_f64 v[56:57], v[36:37], s[24:25], v[116:117]
	v_fma_f64 v[191:192], v[36:37], s[16:17], -v[136:137]
	v_fma_f64 v[136:137], v[36:37], s[16:17], v[136:137]
	v_fma_f64 v[195:196], v[36:37], s[14:15], -v[157:158]
	;; [unrolled: 2-line block ×3, first 2 shown]
	v_add_f64 v[22:23], v[38:39], v[22:23]
	v_add_f64 v[20:21], v[40:41], v[20:21]
	v_mul_f64 v[38:39], v[66:67], s[10:11]
	v_mul_f64 v[40:41], v[64:65], s[12:13]
	v_fma_f64 v[197:198], v[14:15], s[6:7], v[54:55]
	v_fma_f64 v[94:95], v[78:79], s[14:15], v[94:95]
	;; [unrolled: 1-line block ×3, first 2 shown]
	v_fma_f64 v[203:204], v[78:79], s[24:25], -v[62:63]
	v_fma_f64 v[52:53], v[72:73], s[24:25], -v[52:53]
	v_fma_f64 v[62:63], v[78:79], s[24:25], v[62:63]
	v_mul_f64 v[50:51], v[50:51], s[26:27]
	v_mul_f64 v[60:61], v[60:61], s[26:27]
	;; [unrolled: 1-line block ×5, first 2 shown]
	v_add_f64 v[88:89], v[6:7], v[88:89]
	v_add_f64 v[102:103], v[4:5], v[102:103]
	v_mul_f64 v[140:141], v[48:49], s[20:21]
	v_mul_f64 v[150:151], v[58:59], s[20:21]
	v_add_f64 v[108:109], v[6:7], v[108:109]
	v_add_f64 v[118:119], v[4:5], v[118:119]
	v_mul_f64 v[130:131], v[58:59], s[26:27]
	v_mul_f64 v[80:81], v[48:49], s[18:19]
	;; [unrolled: 1-line block ×3, first 2 shown]
	v_add_f64 v[128:129], v[6:7], v[128:129]
	v_mul_f64 v[48:49], v[48:49], s[28:29]
	v_add_f64 v[138:139], v[4:5], v[138:139]
	v_add_f64 v[148:149], v[6:7], v[148:149]
	v_add_f64 v[159:160], v[4:5], v[159:160]
	v_fma_f64 v[66:67], v[70:71], s[6:7], v[82:83]
	v_fma_f64 v[169:170], v[76:77], s[6:7], -v[92:93]
	v_fma_f64 v[82:83], v[70:71], s[6:7], -v[82:83]
	v_fma_f64 v[92:93], v[76:77], s[6:7], v[92:93]
	v_mul_f64 v[58:59], v[58:59], s[28:29]
	v_add_f64 v[22:23], v[22:23], v[26:27]
	v_add_f64 v[20:21], v[20:21], v[24:25]
	v_fma_f64 v[24:25], v[44:45], s[2:3], v[38:39]
	v_fma_f64 v[26:27], v[44:45], s[2:3], -v[38:39]
	v_fma_f64 v[38:39], v[14:15], s[24:25], v[46:47]
	v_fma_f64 v[44:45], v[36:37], s[24:25], -v[116:117]
	v_fma_f64 v[46:47], v[14:15], s[24:25], -v[46:47]
	v_fma_f64 v[116:117], v[14:15], s[16:17], v[126:127]
	v_fma_f64 v[126:127], v[14:15], s[16:17], -v[126:127]
	v_fma_f64 v[199:200], v[36:37], s[6:7], -v[40:41]
	;; [unrolled: 1-line block ×3, first 2 shown]
	v_fma_f64 v[36:37], v[36:37], s[6:7], v[40:41]
	v_add_f64 v[40:41], v[6:7], v[165:166]
	v_add_f64 v[54:55], v[4:5], v[175:176]
	;; [unrolled: 1-line block ×10, first 2 shown]
	v_fma_f64 v[187:188], v[72:73], s[16:17], v[144:145]
	v_fma_f64 v[189:190], v[78:79], s[16:17], -v[155:156]
	v_fma_f64 v[144:145], v[72:73], s[16:17], -v[144:145]
	v_fma_f64 v[155:156], v[78:79], s[16:17], v[155:156]
	v_add_f64 v[56:57], v[56:57], v[118:119]
	v_add_f64 v[118:119], v[193:194], v[148:149]
	v_fma_f64 v[148:149], v[70:71], s[14:15], v[50:51]
	v_fma_f64 v[50:51], v[70:71], s[14:15], -v[50:51]
	v_fma_f64 v[64:65], v[68:69], s[24:25], v[80:81]
	v_fma_f64 v[167:168], v[74:75], s[24:25], -v[90:91]
	v_fma_f64 v[80:81], v[68:69], s[24:25], -v[80:81]
	v_fma_f64 v[90:91], v[74:75], s[24:25], v[90:91]
	v_add_f64 v[18:19], v[22:23], v[30:31]
	v_add_f64 v[20:21], v[20:21], v[28:29]
	;; [unrolled: 1-line block ×4, first 2 shown]
	v_fma_f64 v[24:25], v[72:73], s[2:3], v[42:43]
	v_fma_f64 v[26:27], v[78:79], s[2:3], -v[114:115]
	v_fma_f64 v[28:29], v[72:73], s[2:3], -v[42:43]
	v_fma_f64 v[30:31], v[78:79], s[2:3], v[114:115]
	v_fma_f64 v[42:43], v[72:73], s[6:7], v[124:125]
	v_fma_f64 v[114:115], v[78:79], s[6:7], -v[134:135]
	v_fma_f64 v[124:125], v[72:73], s[6:7], -v[124:125]
	v_fma_f64 v[134:135], v[78:79], s[6:7], v[134:135]
	v_add_f64 v[72:73], v[86:87], v[88:89]
	v_add_f64 v[78:79], v[100:101], v[102:103]
	v_add_f64 v[38:39], v[38:39], v[165:166]
	v_add_f64 v[44:45], v[44:45], v[175:176]
	v_add_f64 v[46:47], v[46:47], v[108:109]
	v_add_f64 v[86:87], v[116:117], v[177:178]
	v_add_f64 v[100:101], v[146:147], v[179:180]
	v_add_f64 v[102:103], v[157:158], v[181:182]
	v_add_f64 v[88:89], v[126:127], v[128:129]
	v_add_f64 v[108:109], v[136:137], v[183:184]
	v_add_f64 v[40:41], v[163:164], v[40:41]
	v_add_f64 v[54:55], v[173:174], v[54:55]
	v_add_f64 v[116:117], v[191:192], v[138:139]
	v_add_f64 v[126:127], v[195:196], v[159:160]
	v_add_f64 v[6:7], v[14:15], v[6:7]
	v_add_f64 v[128:129], v[197:198], v[185:186]
	v_fma_f64 v[136:137], v[70:71], s[24:25], v[142:143]
	v_fma_f64 v[142:143], v[70:71], s[24:25], -v[142:143]
	v_fma_f64 v[146:147], v[76:77], s[24:25], v[153:154]
	v_fma_f64 v[138:139], v[76:77], s[24:25], -v[153:154]
	v_fma_f64 v[153:154], v[76:77], s[14:15], -v[60:61]
	v_fma_f64 v[60:61], v[76:77], s[14:15], v[60:61]
	v_add_f64 v[14:15], v[18:19], v[34:35]
	v_add_f64 v[18:19], v[20:21], v[32:33]
	;; [unrolled: 1-line block ×4, first 2 shown]
	v_fma_f64 v[22:23], v[70:71], s[16:17], v[106:107]
	v_fma_f64 v[32:33], v[76:77], s[16:17], -v[112:113]
	v_fma_f64 v[34:35], v[70:71], s[16:17], -v[106:107]
	v_fma_f64 v[36:37], v[76:77], s[16:17], v[112:113]
	v_fma_f64 v[106:107], v[70:71], s[2:3], v[122:123]
	v_add_f64 v[30:31], v[30:31], v[56:57]
	v_fma_f64 v[112:113], v[76:77], s[2:3], -v[132:133]
	v_fma_f64 v[122:123], v[70:71], s[2:3], -v[122:123]
	v_fma_f64 v[132:133], v[76:77], s[2:3], v[132:133]
	v_add_f64 v[70:71], v[84:85], v[72:73]
	v_add_f64 v[24:25], v[24:25], v[38:39]
	;; [unrolled: 1-line block ×17, first 2 shown]
	v_fma_f64 v[88:89], v[68:69], s[14:15], v[120:121]
	v_fma_f64 v[114:115], v[74:75], s[2:3], v[150:151]
	v_fma_f64 v[52:53], v[68:69], s[6:7], -v[104:105]
	v_fma_f64 v[100:101], v[68:69], s[14:15], -v[120:121]
	v_fma_f64 v[102:103], v[74:75], s[14:15], v[130:131]
	v_fma_f64 v[116:117], v[68:69], s[16:17], v[48:49]
	v_fma_f64 v[48:49], v[68:69], s[16:17], -v[48:49]
	v_fma_f64 v[94:95], v[74:75], s[14:15], -v[130:131]
	v_add_f64 v[12:13], v[14:15], v[12:13]
	v_add_f64 v[14:15], v[18:19], v[16:17]
	;; [unrolled: 1-line block ×4, first 2 shown]
	v_fma_f64 v[18:19], v[68:69], s[6:7], v[104:105]
	v_fma_f64 v[20:21], v[74:75], s[6:7], -v[110:111]
	v_fma_f64 v[62:63], v[74:75], s[6:7], v[110:111]
	v_fma_f64 v[110:111], v[68:69], s[2:3], -v[140:141]
	;; [unrolled: 2-line block ×3, first 2 shown]
	v_fma_f64 v[118:119], v[74:75], s[16:17], -v[58:59]
	v_fma_f64 v[58:59], v[74:75], s[16:17], v[58:59]
	v_add_f64 v[22:23], v[22:23], v[24:25]
	v_add_f64 v[24:25], v[32:33], v[26:27]
	;; [unrolled: 1-line block ×44, first 2 shown]
	ds_store_b128 v152, v[28:31] offset:3392
	ds_store_b128 v152, v[24:27] offset:4736
	ds_store_b128 v152, v[16:19] offset:6080
	ds_store_b128 v152, v[8:11] offset:7424
	ds_store_b128 v152, v[4:7] offset:8768
	ds_store_b128 v152, v[12:15] offset:10112
	ds_store_b128 v152, v[20:23] offset:11456
	ds_store_b128 v152, v[32:35] offset:12800
	ds_store_b128 v152, v[0:3] offset:704
	ds_store_b128 v152, v[40:43] offset:2048
	ds_store_b128 v152, v[36:39] offset:14144
.LBB0_29:
	s_or_b32 exec_lo, exec_lo, s1
	s_waitcnt lgkmcnt(0)
	s_barrier
	buffer_gl0_inv
	s_and_saveexec_b32 s0, vcc_lo
	s_cbranch_execz .LBB0_31
; %bb.30:
	v_dual_mov_b32 v97, 0 :: v_dual_add_nc_u32 v8, 44, v96
	v_add_co_u32 v30, vcc_lo, s8, v98
	v_lshl_add_u32 v28, v96, 4, 0
	s_delay_alu instid0(VALU_DEP_3) | instskip(SKIP_3) | instid1(VALU_DEP_4)
	v_lshlrev_b64 v[0:1], 4, v[96:97]
	v_add_co_ci_u32_e32 v31, vcc_lo, s9, v99, vcc_lo
	v_dual_mov_b32 v9, v97 :: v_dual_add_nc_u32 v10, 0x58, v96
	v_dual_mov_b32 v11, v97 :: v_dual_add_nc_u32 v22, 0x84, v96
	v_add_co_u32 v16, vcc_lo, v30, v0
	s_delay_alu instid0(VALU_DEP_4)
	v_add_co_ci_u32_e32 v17, vcc_lo, v31, v1, vcc_lo
	ds_load_b128 v[0:3], v28
	ds_load_b128 v[4:7], v28 offset:704
	v_lshlrev_b64 v[18:19], 4, v[8:9]
	v_lshlrev_b64 v[20:21], 4, v[10:11]
	ds_load_b128 v[8:11], v28 offset:1408
	ds_load_b128 v[12:15], v28 offset:2112
	v_dual_mov_b32 v23, v97 :: v_dual_add_nc_u32 v24, 0xb0, v96
	v_mov_b32_e32 v25, v97
	v_add_co_u32 v18, vcc_lo, v30, v18
	s_delay_alu instid0(VALU_DEP_3) | instskip(SKIP_3) | instid1(VALU_DEP_4)
	v_lshlrev_b64 v[22:23], 4, v[22:23]
	v_add_co_ci_u32_e32 v19, vcc_lo, v31, v19, vcc_lo
	v_add_co_u32 v20, vcc_lo, v30, v20
	v_add_co_ci_u32_e32 v21, vcc_lo, v31, v21, vcc_lo
	v_add_co_u32 v22, vcc_lo, v30, v22
	v_add_co_ci_u32_e32 v23, vcc_lo, v31, v23, vcc_lo
	s_waitcnt lgkmcnt(3)
	global_store_b128 v[16:17], v[0:3], off
	s_waitcnt lgkmcnt(2)
	global_store_b128 v[18:19], v[4:7], off
	;; [unrolled: 2-line block ×4, first 2 shown]
	v_add_nc_u32_e32 v8, 0xdc, v96
	v_lshlrev_b64 v[0:1], 4, v[24:25]
	v_dual_mov_b32 v9, v97 :: v_dual_add_nc_u32 v10, 0x108, v96
	v_dual_mov_b32 v11, v97 :: v_dual_add_nc_u32 v22, 0x134, v96
	;; [unrolled: 1-line block ×3, first 2 shown]
	s_delay_alu instid0(VALU_DEP_4)
	v_add_co_u32 v16, vcc_lo, v30, v0
	v_add_co_ci_u32_e32 v17, vcc_lo, v31, v1, vcc_lo
	ds_load_b128 v[0:3], v28 offset:2816
	ds_load_b128 v[4:7], v28 offset:3520
	v_lshlrev_b64 v[18:19], 4, v[8:9]
	v_lshlrev_b64 v[20:21], 4, v[10:11]
	ds_load_b128 v[8:11], v28 offset:4224
	ds_load_b128 v[12:15], v28 offset:4928
	v_lshlrev_b64 v[22:23], 4, v[22:23]
	v_add_co_u32 v18, vcc_lo, v30, v18
	v_add_co_ci_u32_e32 v19, vcc_lo, v31, v19, vcc_lo
	v_add_co_u32 v20, vcc_lo, v30, v20
	v_add_co_ci_u32_e32 v21, vcc_lo, v31, v21, vcc_lo
	v_add_co_u32 v22, vcc_lo, v30, v22
	v_add_co_ci_u32_e32 v23, vcc_lo, v31, v23, vcc_lo
	s_waitcnt lgkmcnt(3)
	global_store_b128 v[16:17], v[0:3], off
	s_waitcnt lgkmcnt(2)
	global_store_b128 v[18:19], v[4:7], off
	s_waitcnt lgkmcnt(1)
	global_store_b128 v[20:21], v[8:11], off
	s_waitcnt lgkmcnt(0)
	global_store_b128 v[22:23], v[12:15], off
	v_lshlrev_b64 v[0:1], 4, v[24:25]
	v_dual_mov_b32 v9, v97 :: v_dual_add_nc_u32 v8, 0x18c, v96
	v_dual_mov_b32 v11, v97 :: v_dual_add_nc_u32 v10, 0x1b8, v96
	;; [unrolled: 1-line block ×3, first 2 shown]
	s_delay_alu instid0(VALU_DEP_4)
	v_add_co_u32 v16, vcc_lo, v30, v0
	v_add_co_ci_u32_e32 v17, vcc_lo, v31, v1, vcc_lo
	ds_load_b128 v[0:3], v28 offset:5632
	ds_load_b128 v[4:7], v28 offset:6336
	v_lshlrev_b64 v[18:19], 4, v[8:9]
	v_lshlrev_b64 v[20:21], 4, v[10:11]
	ds_load_b128 v[8:11], v28 offset:7040
	ds_load_b128 v[12:15], v28 offset:7744
	v_lshlrev_b64 v[22:23], 4, v[22:23]
	v_add_nc_u32_e32 v24, 0x210, v96
	v_add_co_u32 v18, vcc_lo, v30, v18
	v_add_co_ci_u32_e32 v19, vcc_lo, v31, v19, vcc_lo
	v_add_co_u32 v20, vcc_lo, v30, v20
	v_add_co_ci_u32_e32 v21, vcc_lo, v31, v21, vcc_lo
	;; [unrolled: 2-line block ×3, first 2 shown]
	s_waitcnt lgkmcnt(3)
	global_store_b128 v[16:17], v[0:3], off
	s_waitcnt lgkmcnt(2)
	global_store_b128 v[18:19], v[4:7], off
	;; [unrolled: 2-line block ×4, first 2 shown]
	v_mov_b32_e32 v9, v97
	v_lshlrev_b64 v[0:1], 4, v[24:25]
	v_dual_mov_b32 v11, v97 :: v_dual_add_nc_u32 v8, 0x23c, v96
	v_dual_mov_b32 v23, v97 :: v_dual_add_nc_u32 v10, 0x268, v96
	v_add_nc_u32_e32 v22, 0x294, v96
	s_delay_alu instid0(VALU_DEP_4)
	v_add_co_u32 v16, vcc_lo, v30, v0
	v_add_co_ci_u32_e32 v17, vcc_lo, v31, v1, vcc_lo
	ds_load_b128 v[0:3], v28 offset:8448
	ds_load_b128 v[4:7], v28 offset:9152
	v_lshlrev_b64 v[18:19], 4, v[8:9]
	v_lshlrev_b64 v[20:21], 4, v[10:11]
	ds_load_b128 v[8:11], v28 offset:9856
	ds_load_b128 v[12:15], v28 offset:10560
	v_add_nc_u32_e32 v24, 0x2c0, v96
	v_add_co_u32 v18, vcc_lo, v30, v18
	v_add_co_ci_u32_e32 v19, vcc_lo, v31, v19, vcc_lo
	s_waitcnt lgkmcnt(3)
	global_store_b128 v[16:17], v[0:3], off
	s_waitcnt lgkmcnt(2)
	global_store_b128 v[18:19], v[4:7], off
	v_mov_b32_e32 v3, v97
	v_lshlrev_b64 v[22:23], 4, v[22:23]
	v_add_co_u32 v20, vcc_lo, v30, v20
	v_add_co_ci_u32_e32 v21, vcc_lo, v31, v21, vcc_lo
	v_add_nc_u32_e32 v2, 0x2ec, v96
	s_delay_alu instid0(VALU_DEP_4)
	v_add_co_u32 v22, vcc_lo, v30, v22
	v_add_co_ci_u32_e32 v23, vcc_lo, v31, v23, vcc_lo
	s_waitcnt lgkmcnt(1)
	global_store_b128 v[20:21], v[8:11], off
	s_waitcnt lgkmcnt(0)
	global_store_b128 v[22:23], v[12:15], off
	v_mov_b32_e32 v11, v97
	v_lshlrev_b64 v[0:1], 4, v[24:25]
	v_lshlrev_b64 v[8:9], 4, v[2:3]
	v_add_nc_u32_e32 v10, 0x318, v96
	v_add_nc_u32_e32 v24, 0x344, v96
	;; [unrolled: 1-line block ×3, first 2 shown]
	v_add_co_u32 v20, vcc_lo, v30, v0
	v_add_co_ci_u32_e32 v21, vcc_lo, v31, v1, vcc_lo
	v_add_co_u32 v22, vcc_lo, v30, v8
	ds_load_b128 v[0:3], v28 offset:11264
	ds_load_b128 v[4:7], v28 offset:11968
	v_add_co_ci_u32_e32 v23, vcc_lo, v31, v9, vcc_lo
	v_lshlrev_b64 v[26:27], 4, v[10:11]
	ds_load_b128 v[8:11], v28 offset:12672
	ds_load_b128 v[12:15], v28 offset:13376
	;; [unrolled: 1-line block ×3, first 2 shown]
	v_lshlrev_b64 v[24:25], 4, v[24:25]
	v_lshlrev_b64 v[28:29], 4, v[96:97]
	v_add_co_u32 v26, vcc_lo, v30, v26
	v_add_co_ci_u32_e32 v27, vcc_lo, v31, v27, vcc_lo
	s_delay_alu instid0(VALU_DEP_4)
	v_add_co_u32 v24, vcc_lo, v30, v24
	v_add_co_ci_u32_e32 v25, vcc_lo, v31, v25, vcc_lo
	v_add_co_u32 v28, vcc_lo, v30, v28
	v_add_co_ci_u32_e32 v29, vcc_lo, v31, v29, vcc_lo
	s_waitcnt lgkmcnt(4)
	global_store_b128 v[20:21], v[0:3], off
	s_waitcnt lgkmcnt(3)
	global_store_b128 v[22:23], v[4:7], off
	s_waitcnt lgkmcnt(2)
	global_store_b128 v[26:27], v[8:11], off
	s_waitcnt lgkmcnt(1)
	global_store_b128 v[24:25], v[12:15], off
	s_waitcnt lgkmcnt(0)
	global_store_b128 v[28:29], v[16:19], off
.LBB0_31:
	s_nop 0
	s_sendmsg sendmsg(MSG_DEALLOC_VGPRS)
	s_endpgm
	.section	.rodata,"a",@progbits
	.p2align	6, 0x0
	.amdhsa_kernel fft_rtc_back_len924_factors_2_2_3_7_11_wgs_44_tpt_44_halfLds_dp_ip_CI_unitstride_sbrr_C2R_dirReg
		.amdhsa_group_segment_fixed_size 0
		.amdhsa_private_segment_fixed_size 0
		.amdhsa_kernarg_size 88
		.amdhsa_user_sgpr_count 15
		.amdhsa_user_sgpr_dispatch_ptr 0
		.amdhsa_user_sgpr_queue_ptr 0
		.amdhsa_user_sgpr_kernarg_segment_ptr 1
		.amdhsa_user_sgpr_dispatch_id 0
		.amdhsa_user_sgpr_private_segment_size 0
		.amdhsa_wavefront_size32 1
		.amdhsa_uses_dynamic_stack 0
		.amdhsa_enable_private_segment 0
		.amdhsa_system_sgpr_workgroup_id_x 1
		.amdhsa_system_sgpr_workgroup_id_y 0
		.amdhsa_system_sgpr_workgroup_id_z 0
		.amdhsa_system_sgpr_workgroup_info 0
		.amdhsa_system_vgpr_workitem_id 0
		.amdhsa_next_free_vgpr 245
		.amdhsa_next_free_sgpr 38
		.amdhsa_reserve_vcc 1
		.amdhsa_float_round_mode_32 0
		.amdhsa_float_round_mode_16_64 0
		.amdhsa_float_denorm_mode_32 3
		.amdhsa_float_denorm_mode_16_64 3
		.amdhsa_dx10_clamp 1
		.amdhsa_ieee_mode 1
		.amdhsa_fp16_overflow 0
		.amdhsa_workgroup_processor_mode 1
		.amdhsa_memory_ordered 1
		.amdhsa_forward_progress 0
		.amdhsa_shared_vgpr_count 0
		.amdhsa_exception_fp_ieee_invalid_op 0
		.amdhsa_exception_fp_denorm_src 0
		.amdhsa_exception_fp_ieee_div_zero 0
		.amdhsa_exception_fp_ieee_overflow 0
		.amdhsa_exception_fp_ieee_underflow 0
		.amdhsa_exception_fp_ieee_inexact 0
		.amdhsa_exception_int_div_zero 0
	.end_amdhsa_kernel
	.text
.Lfunc_end0:
	.size	fft_rtc_back_len924_factors_2_2_3_7_11_wgs_44_tpt_44_halfLds_dp_ip_CI_unitstride_sbrr_C2R_dirReg, .Lfunc_end0-fft_rtc_back_len924_factors_2_2_3_7_11_wgs_44_tpt_44_halfLds_dp_ip_CI_unitstride_sbrr_C2R_dirReg
                                        ; -- End function
	.section	.AMDGPU.csdata,"",@progbits
; Kernel info:
; codeLenInByte = 18996
; NumSgprs: 40
; NumVgprs: 245
; ScratchSize: 0
; MemoryBound: 0
; FloatMode: 240
; IeeeMode: 1
; LDSByteSize: 0 bytes/workgroup (compile time only)
; SGPRBlocks: 4
; VGPRBlocks: 30
; NumSGPRsForWavesPerEU: 40
; NumVGPRsForWavesPerEU: 245
; Occupancy: 5
; WaveLimiterHint : 1
; COMPUTE_PGM_RSRC2:SCRATCH_EN: 0
; COMPUTE_PGM_RSRC2:USER_SGPR: 15
; COMPUTE_PGM_RSRC2:TRAP_HANDLER: 0
; COMPUTE_PGM_RSRC2:TGID_X_EN: 1
; COMPUTE_PGM_RSRC2:TGID_Y_EN: 0
; COMPUTE_PGM_RSRC2:TGID_Z_EN: 0
; COMPUTE_PGM_RSRC2:TIDIG_COMP_CNT: 0
	.text
	.p2alignl 7, 3214868480
	.fill 96, 4, 3214868480
	.type	__hip_cuid_ca07cfe17ad0e060,@object ; @__hip_cuid_ca07cfe17ad0e060
	.section	.bss,"aw",@nobits
	.globl	__hip_cuid_ca07cfe17ad0e060
__hip_cuid_ca07cfe17ad0e060:
	.byte	0                               ; 0x0
	.size	__hip_cuid_ca07cfe17ad0e060, 1

	.ident	"AMD clang version 19.0.0git (https://github.com/RadeonOpenCompute/llvm-project roc-6.4.0 25133 c7fe45cf4b819c5991fe208aaa96edf142730f1d)"
	.section	".note.GNU-stack","",@progbits
	.addrsig
	.addrsig_sym __hip_cuid_ca07cfe17ad0e060
	.amdgpu_metadata
---
amdhsa.kernels:
  - .args:
      - .actual_access:  read_only
        .address_space:  global
        .offset:         0
        .size:           8
        .value_kind:     global_buffer
      - .offset:         8
        .size:           8
        .value_kind:     by_value
      - .actual_access:  read_only
        .address_space:  global
        .offset:         16
        .size:           8
        .value_kind:     global_buffer
      - .actual_access:  read_only
        .address_space:  global
        .offset:         24
        .size:           8
        .value_kind:     global_buffer
      - .offset:         32
        .size:           8
        .value_kind:     by_value
      - .actual_access:  read_only
        .address_space:  global
        .offset:         40
        .size:           8
        .value_kind:     global_buffer
      - .actual_access:  read_only
        .address_space:  global
        .offset:         48
        .size:           8
        .value_kind:     global_buffer
      - .offset:         56
        .size:           4
        .value_kind:     by_value
      - .actual_access:  read_only
        .address_space:  global
        .offset:         64
        .size:           8
        .value_kind:     global_buffer
      - .actual_access:  read_only
        .address_space:  global
        .offset:         72
        .size:           8
        .value_kind:     global_buffer
      - .address_space:  global
        .offset:         80
        .size:           8
        .value_kind:     global_buffer
    .group_segment_fixed_size: 0
    .kernarg_segment_align: 8
    .kernarg_segment_size: 88
    .language:       OpenCL C
    .language_version:
      - 2
      - 0
    .max_flat_workgroup_size: 44
    .name:           fft_rtc_back_len924_factors_2_2_3_7_11_wgs_44_tpt_44_halfLds_dp_ip_CI_unitstride_sbrr_C2R_dirReg
    .private_segment_fixed_size: 0
    .sgpr_count:     40
    .sgpr_spill_count: 0
    .symbol:         fft_rtc_back_len924_factors_2_2_3_7_11_wgs_44_tpt_44_halfLds_dp_ip_CI_unitstride_sbrr_C2R_dirReg.kd
    .uniform_work_group_size: 1
    .uses_dynamic_stack: false
    .vgpr_count:     245
    .vgpr_spill_count: 0
    .wavefront_size: 32
    .workgroup_processor_mode: 1
amdhsa.target:   amdgcn-amd-amdhsa--gfx1100
amdhsa.version:
  - 1
  - 2
...

	.end_amdgpu_metadata
